;; amdgpu-corpus repo=ROCm/rocFFT kind=compiled arch=gfx1030 opt=O3
	.text
	.amdgcn_target "amdgcn-amd-amdhsa--gfx1030"
	.amdhsa_code_object_version 6
	.protected	bluestein_single_back_len51_dim1_dp_op_CI_CI ; -- Begin function bluestein_single_back_len51_dim1_dp_op_CI_CI
	.globl	bluestein_single_back_len51_dim1_dp_op_CI_CI
	.p2align	8
	.type	bluestein_single_back_len51_dim1_dp_op_CI_CI,@function
bluestein_single_back_len51_dim1_dp_op_CI_CI: ; @bluestein_single_back_len51_dim1_dp_op_CI_CI
; %bb.0:
	s_load_dwordx4 s[0:3], s[4:5], 0x28
	v_mul_u32_u24_e32 v1, 0xf10, v0
	v_lshrrev_b32_e32 v1, 16, v1
	v_mad_u64_u32 v[124:125], null, s6, 15, v[1:2]
	v_mov_b32_e32 v125, 0
	s_waitcnt lgkmcnt(0)
	v_cmp_gt_u64_e32 vcc_lo, s[0:1], v[124:125]
	s_and_saveexec_b32 s0, vcc_lo
	s_cbranch_execz .LBB0_15
; %bb.1:
	v_mul_hi_u32 v2, 0x88888889, v124
	v_mul_lo_u16 v1, v1, 17
	s_clause 0x1
	s_load_dwordx2 s[6:7], s[4:5], 0x0
	s_load_dwordx2 s[12:13], s[4:5], 0x38
	v_sub_nc_u16 v0, v0, v1
	v_lshrrev_b32_e32 v2, 3, v2
	v_and_b32_e32 v230, 0xffff, v0
	v_cmp_gt_u16_e32 vcc_lo, 3, v0
	v_mul_lo_u32 v2, v2, 15
	v_lshlrev_b32_e32 v226, 4, v230
	v_or_b32_e32 v229, 12, v230
	v_or_b32_e32 v228, 24, v230
	;; [unrolled: 1-line block ×4, first 2 shown]
	v_sub_nc_u32_e32 v1, v124, v2
	v_mul_u32_u24_e32 v231, 51, v1
	v_lshlrev_b32_e32 v232, 4, v231
	s_and_saveexec_b32 s1, vcc_lo
	s_cbranch_execz .LBB0_3
; %bb.2:
	s_load_dwordx2 s[8:9], s[4:5], 0x18
	s_waitcnt lgkmcnt(0)
	s_load_dwordx4 s[8:11], s[8:9], 0x0
	s_clause 0x5
	global_load_dwordx4 v[0:3], v226, s[6:7]
	global_load_dwordx4 v[4:7], v226, s[6:7] offset:48
	global_load_dwordx4 v[8:11], v226, s[6:7] offset:192
	;; [unrolled: 1-line block ×5, first 2 shown]
	s_waitcnt lgkmcnt(0)
	v_mad_u64_u32 v[24:25], null, s10, v124, 0
	v_mad_u64_u32 v[26:27], null, s8, v230, 0
	;; [unrolled: 1-line block ×9, first 2 shown]
	v_mov_b32_e32 v25, v36
	v_mad_u64_u32 v[39:40], null, s9, v228, v[31:32]
	v_mad_u64_u32 v[40:41], null, s9, v227, v[33:34]
	v_mad_u64_u32 v[41:42], null, s9, v225, v[35:36]
	v_mov_b32_e32 v27, v37
	v_lshlrev_b64 v[24:25], 4, v[24:25]
	v_mov_b32_e32 v29, v38
	s_mul_i32 s0, s9, 48
	s_mul_hi_u32 s14, s8, 48
	v_lshlrev_b64 v[26:27], 4, v[26:27]
	s_add_i32 s14, s14, s0
	v_mov_b32_e32 v33, v40
	v_mov_b32_e32 v35, v41
	v_add_co_u32 v40, s0, s2, v24
	v_lshlrev_b64 v[28:29], 4, v[28:29]
	v_add_co_ci_u32_e64 v41, s0, s3, v25, s0
	v_mov_b32_e32 v31, v39
	v_lshlrev_b64 v[24:25], 4, v[34:35]
	v_add_co_u32 v34, s0, v40, v26
	v_add_co_ci_u32_e64 v35, s0, v41, v27, s0
	v_lshlrev_b64 v[30:31], 4, v[30:31]
	v_add_co_u32 v36, s0, v40, v28
	s_mul_i32 s10, s8, 48
	v_add_co_ci_u32_e64 v37, s0, v41, v29, s0
	v_add_co_u32 v38, s0, v34, s10
	v_add_co_ci_u32_e64 v39, s0, s14, v35, s0
	v_lshlrev_b64 v[32:33], 4, v[32:33]
	v_add_co_u32 v26, s0, v40, v30
	v_add_co_ci_u32_e64 v27, s0, v41, v31, s0
	v_add_co_u32 v64, s0, v38, s10
	v_add_co_ci_u32_e64 v65, s0, s14, v39, s0
	v_add_co_u32 v44, s0, v40, v32
	v_add_co_ci_u32_e64 v45, s0, v41, v33, s0
	v_add_co_u32 v68, s0, v64, s10
	v_add_co_ci_u32_e64 v69, s0, s14, v65, s0
	v_add_co_u32 v56, s0, v40, v24
	s_mul_i32 s15, s9, 0x60
	s_mul_hi_u32 s16, s8, 0x60
	s_mulk_i32 s8, 0x60
	v_add_co_ci_u32_e64 v57, s0, v41, v25, s0
	s_add_i32 s16, s16, s15
	v_add_co_u32 v66, s0, v68, s8
	v_add_co_ci_u32_e64 v67, s0, s16, v69, s0
	s_clause 0x5
	global_load_dwordx4 v[24:27], v[26:27], off
	global_load_dwordx4 v[28:31], v[34:35], off
	;; [unrolled: 1-line block ×6, first 2 shown]
	s_clause 0x1
	global_load_dwordx4 v[48:51], v226, s[6:7] offset:576
	global_load_dwordx4 v[52:55], v226, s[6:7] offset:624
	global_load_dwordx4 v[56:59], v[56:57], off
	global_load_dwordx4 v[60:63], v226, s[6:7] offset:768
	v_add_co_u32 v84, s0, v66, s10
	v_add_co_ci_u32_e64 v85, s0, s14, v67, s0
	s_clause 0x1
	global_load_dwordx4 v[64:67], v[64:65], off
	global_load_dwordx4 v[68:71], v[68:69], off
	s_clause 0x1
	global_load_dwordx4 v[72:75], v226, s[6:7] offset:96
	global_load_dwordx4 v[76:79], v226, s[6:7] offset:144
	global_load_dwordx4 v[80:83], v[84:85], off
	v_add_co_u32 v92, s0, v84, s10
	v_add_co_ci_u32_e64 v93, s0, s14, v85, s0
	s_clause 0x1
	global_load_dwordx4 v[84:87], v226, s[6:7] offset:288
	global_load_dwordx4 v[88:91], v226, s[6:7] offset:336
	v_add_co_u32 v96, s0, v92, s8
	v_add_co_ci_u32_e64 v97, s0, s16, v93, s0
	global_load_dwordx4 v[92:95], v[92:93], off
	v_add_co_u32 v100, s0, v96, s10
	v_add_co_ci_u32_e64 v101, s0, s14, v97, s0
	global_load_dwordx4 v[96:99], v[96:97], off
	;; [unrolled: 3-line block ×3, first 2 shown]
	v_add_co_u32 v116, s0, v112, s8
	v_add_co_ci_u32_e64 v117, s0, s16, v113, s0
	s_clause 0x1
	global_load_dwordx4 v[104:107], v226, s[6:7] offset:480
	global_load_dwordx4 v[108:111], v226, s[6:7] offset:528
	v_add_co_u32 v120, s0, v116, s10
	v_add_co_ci_u32_e64 v121, s0, s14, v117, s0
	global_load_dwordx4 v[112:115], v[112:113], off
	v_add_co_u32 v133, s0, v120, s10
	v_add_co_ci_u32_e64 v134, s0, s14, v121, s0
	global_load_dwordx4 v[116:119], v[116:117], off
	global_load_dwordx4 v[120:123], v[120:121], off
	s_clause 0x1
	global_load_dwordx4 v[125:128], v226, s[6:7] offset:672
	global_load_dwordx4 v[129:132], v226, s[6:7] offset:720
	global_load_dwordx4 v[133:136], v[133:134], off
	s_waitcnt vmcnt(27)
	v_mul_f64 v[141:142], v[26:27], v[18:19]
	s_waitcnt vmcnt(26)
	v_mul_f64 v[137:138], v[30:31], v[2:3]
	v_mul_f64 v[2:3], v[28:29], v[2:3]
	s_waitcnt vmcnt(24)
	v_mul_f64 v[139:140], v[38:39], v[10:11]
	v_mul_f64 v[10:11], v[36:37], v[10:11]
	;; [unrolled: 1-line block ×3, first 2 shown]
	s_waitcnt vmcnt(21)
	v_mul_f64 v[143:144], v[46:47], v[50:51]
	v_mul_f64 v[50:51], v[44:45], v[50:51]
	;; [unrolled: 1-line block ×4, first 2 shown]
	s_waitcnt vmcnt(18)
	v_mul_f64 v[145:146], v[58:59], v[62:63]
	v_mul_f64 v[151:152], v[56:57], v[62:63]
	s_waitcnt vmcnt(15)
	v_mul_f64 v[62:63], v[66:67], v[74:75]
	v_mul_f64 v[74:75], v[64:65], v[74:75]
	;; [unrolled: 3-line block ×3, first 2 shown]
	v_mul_f64 v[155:156], v[42:43], v[14:15]
	v_mul_f64 v[157:158], v[40:41], v[14:15]
	v_fma_f64 v[6:7], v[24:25], v[16:17], v[141:142]
	v_fma_f64 v[28:29], v[28:29], v[0:1], v[137:138]
	v_fma_f64 v[30:31], v[30:31], v[0:1], -v[2:3]
	v_fma_f64 v[0:1], v[36:37], v[8:9], v[139:140]
	v_fma_f64 v[2:3], v[38:39], v[8:9], -v[10:11]
	v_fma_f64 v[8:9], v[26:27], v[16:17], -v[18:19]
	s_waitcnt vmcnt(12)
	v_mul_f64 v[18:19], v[82:83], v[86:87]
	v_fma_f64 v[16:17], v[46:47], v[48:49], -v[50:51]
	v_mul_f64 v[46:47], v[80:81], v[86:87]
	v_fma_f64 v[24:25], v[32:33], v[4:5], v[147:148]
	v_fma_f64 v[26:27], v[34:35], v[4:5], -v[149:150]
	s_waitcnt vmcnt(10)
	v_mul_f64 v[4:5], v[94:95], v[90:91]
	v_mul_f64 v[50:51], v[92:93], v[90:91]
	v_fma_f64 v[10:11], v[56:57], v[60:61], v[145:146]
	s_waitcnt vmcnt(9)
	v_mul_f64 v[56:57], v[98:99], v[22:23]
	v_mul_f64 v[22:23], v[96:97], v[22:23]
	s_waitcnt vmcnt(7)
	v_mul_f64 v[86:87], v[102:103], v[106:107]
	v_mul_f64 v[90:91], v[100:101], v[106:107]
	v_fma_f64 v[14:15], v[44:45], v[48:49], v[143:144]
	v_fma_f64 v[32:33], v[64:65], v[72:73], v[62:63]
	v_fma_f64 v[34:35], v[66:67], v[72:73], -v[74:75]
	v_fma_f64 v[36:37], v[68:69], v[76:77], v[153:154]
	s_waitcnt vmcnt(5)
	v_mul_f64 v[106:107], v[114:115], v[110:111]
	v_mul_f64 v[110:111], v[112:113], v[110:111]
	s_waitcnt vmcnt(4)
	v_mul_f64 v[137:138], v[118:119], v[54:55]
	v_mul_f64 v[139:140], v[116:117], v[54:55]
	s_waitcnt vmcnt(2)
	v_mul_f64 v[141:142], v[122:123], v[127:128]
	v_mul_f64 v[127:128], v[120:121], v[127:128]
	s_waitcnt vmcnt(0)
	v_mul_f64 v[143:144], v[135:136], v[131:132]
	v_mul_f64 v[131:132], v[133:134], v[131:132]
	v_fma_f64 v[38:39], v[70:71], v[76:77], -v[78:79]
	v_fma_f64 v[40:41], v[40:41], v[12:13], v[155:156]
	v_fma_f64 v[42:43], v[42:43], v[12:13], -v[157:158]
	v_fma_f64 v[44:45], v[80:81], v[84:85], v[18:19]
	;; [unrolled: 2-line block ×5, first 2 shown]
	v_fma_f64 v[56:57], v[102:103], v[104:105], -v[90:91]
	v_fma_f64 v[12:13], v[58:59], v[60:61], -v[151:152]
	v_lshl_add_u32 v4, v230, 4, v232
	v_add_nc_u32_e32 v5, v232, v226
	v_fma_f64 v[62:63], v[112:113], v[108:109], v[106:107]
	v_fma_f64 v[64:65], v[114:115], v[108:109], -v[110:111]
	v_fma_f64 v[66:67], v[116:117], v[52:53], v[137:138]
	v_fma_f64 v[68:69], v[118:119], v[52:53], -v[139:140]
	;; [unrolled: 2-line block ×4, first 2 shown]
	ds_write_b128 v4, v[28:31]
	ds_write_b128 v5, v[0:3] offset:192
	ds_write_b128 v5, v[6:9] offset:384
	;; [unrolled: 1-line block ×16, first 2 shown]
.LBB0_3:
	s_or_b32 exec_lo, exec_lo, s1
	s_clause 0x1
	s_load_dwordx2 s[0:1], s[4:5], 0x20
	s_load_dwordx2 s[4:5], s[4:5], 0x8
	s_waitcnt lgkmcnt(0)
	s_barrier
	buffer_gl0_inv
                                        ; implicit-def: $vgpr26_vgpr27
                                        ; implicit-def: $vgpr34_vgpr35
                                        ; implicit-def: $vgpr38_vgpr39
                                        ; implicit-def: $vgpr46_vgpr47
                                        ; implicit-def: $vgpr54_vgpr55
                                        ; implicit-def: $vgpr58_vgpr59
                                        ; implicit-def: $vgpr50_vgpr51
                                        ; implicit-def: $vgpr42_vgpr43
                                        ; implicit-def: $vgpr30_vgpr31
                                        ; implicit-def: $vgpr22_vgpr23
                                        ; implicit-def: $vgpr18_vgpr19
                                        ; implicit-def: $vgpr14_vgpr15
                                        ; implicit-def: $vgpr10_vgpr11
                                        ; implicit-def: $vgpr64_vgpr65
                                        ; implicit-def: $vgpr60_vgpr61
                                        ; implicit-def: $vgpr68_vgpr69
                                        ; implicit-def: $vgpr72_vgpr73
	s_and_saveexec_b32 s2, vcc_lo
	s_cbranch_execz .LBB0_5
; %bb.4:
	v_lshl_add_u32 v0, v231, 4, v226
	ds_read_b128 v[8:11], v0
	ds_read_b128 v[12:15], v0 offset:48
	ds_read_b128 v[16:19], v0 offset:96
	ds_read_b128 v[20:23], v0 offset:144
	ds_read_b128 v[28:31], v0 offset:192
	ds_read_b128 v[40:43], v0 offset:240
	ds_read_b128 v[48:51], v0 offset:288
	ds_read_b128 v[56:59], v0 offset:336
	ds_read_b128 v[52:55], v0 offset:384
	ds_read_b128 v[44:47], v0 offset:432
	ds_read_b128 v[36:39], v0 offset:480
	ds_read_b128 v[32:35], v0 offset:528
	ds_read_b128 v[24:27], v0 offset:576
	ds_read_b128 v[64:67], v0 offset:624
	ds_read_b128 v[60:63], v0 offset:672
	ds_read_b128 v[68:71], v0 offset:720
	ds_read_b128 v[72:75], v0 offset:768
.LBB0_5:
	s_or_b32 exec_lo, exec_lo, s2
	s_waitcnt lgkmcnt(0)
	v_add_f64 v[2:3], v[14:15], -v[74:75]
	s_mov_b32 s52, 0x5d8e7cdc
	s_mov_b32 s53, 0xbfd71e95
	v_add_f64 v[125:126], v[12:13], v[72:73]
	v_add_f64 v[0:1], v[12:13], -v[72:73]
	v_add_f64 v[151:152], v[18:19], -v[70:71]
	s_mov_b32 s2, 0x370991
	s_mov_b32 s46, 0x2a9d6da3
	;; [unrolled: 1-line block ×4, first 2 shown]
	v_add_f64 v[127:128], v[14:15], v[74:75]
	v_add_f64 v[137:138], v[16:17], v[68:69]
	v_add_f64 v[149:150], v[16:17], -v[68:69]
	s_mov_b32 s28, 0x75d4884
	s_mov_b32 s29, 0x3fe7a5f6
	v_add_f64 v[139:140], v[18:19], v[70:71]
	s_mov_b32 s34, 0xeb564b22
	s_mov_b32 s35, 0xbfefdd0d
	;; [unrolled: 1-line block ×6, first 2 shown]
	v_mul_f64 v[129:130], v[2:3], s[52:53]
	v_mul_f64 v[133:134], v[2:3], s[46:47]
	;; [unrolled: 1-line block ×3, first 2 shown]
	s_mov_b32 s8, 0x2b2883cd
	v_mul_f64 v[131:132], v[0:1], s[52:53]
	v_mul_f64 v[141:142], v[151:152], s[46:47]
	;; [unrolled: 1-line block ×3, first 2 shown]
	s_mov_b32 s22, 0x6c9a05f6
	s_mov_b32 s9, 0x3fdc86fa
	;; [unrolled: 1-line block ×5, first 2 shown]
	v_mul_f64 v[143:144], v[149:150], s[46:47]
	v_mul_f64 v[147:148], v[149:150], s[34:35]
	;; [unrolled: 1-line block ×4, first 2 shown]
	s_mov_b32 s14, 0xacd6c6b4
	s_mov_b32 s15, 0xbfc7851a
	;; [unrolled: 1-line block ×4, first 2 shown]
	v_mul_f64 v[92:93], v[0:1], s[34:35]
	s_mov_b32 s26, 0x923c349f
	v_fma_f64 v[4:5], v[125:126], s[2:3], v[129:130]
	v_fma_f64 v[76:77], v[125:126], s[28:29], v[133:134]
	v_fma_f64 v[82:83], v[125:126], s[8:9], -v[80:81]
	v_fma_f64 v[80:81], v[125:126], s[8:9], v[80:81]
	v_fma_f64 v[6:7], v[127:128], s[2:3], -v[131:132]
	;; [unrolled: 2-line block ×3, first 2 shown]
	s_mov_b32 s27, 0xbfeec746
	s_mov_b32 s10, 0xc61f0d01
	v_mul_f64 v[96:97], v[2:3], s[26:27]
	s_mov_b32 s18, 0x4363dd80
	s_mov_b32 s11, 0xbfd183b1
	;; [unrolled: 1-line block ×4, first 2 shown]
	v_fma_f64 v[86:87], v[127:128], s[8:9], v[84:85]
	v_fma_f64 v[84:85], v[127:128], s[8:9], -v[84:85]
	v_fma_f64 v[90:91], v[125:126], s[30:31], -v[88:89]
	v_fma_f64 v[88:89], v[125:126], s[30:31], v[88:89]
	s_mov_b32 s42, s18
	s_mov_b32 s20, 0x910ea3b9
	v_fma_f64 v[94:95], v[127:128], s[30:31], v[92:93]
	v_fma_f64 v[92:93], v[127:128], s[30:31], -v[92:93]
	v_add_f64 v[4:5], v[8:9], v[4:5]
	v_add_f64 v[76:77], v[8:9], v[76:77]
	;; [unrolled: 1-line block ×5, first 2 shown]
	s_mov_b32 s21, 0xbfeb34fa
	v_add_f64 v[78:79], v[10:11], v[78:79]
	v_mul_f64 v[100:101], v[0:1], s[26:27]
	v_mul_f64 v[104:105], v[2:3], s[22:23]
	v_fma_f64 v[98:99], v[125:126], s[10:11], -v[96:97]
	v_fma_f64 v[96:97], v[125:126], s[10:11], v[96:97]
	s_mov_b32 s41, 0x3feec746
	s_mov_b32 s40, s26
	v_mul_f64 v[108:109], v[0:1], s[22:23]
	v_add_f64 v[86:87], v[10:11], v[86:87]
	v_add_f64 v[84:85], v[10:11], v[84:85]
	;; [unrolled: 1-line block ×4, first 2 shown]
	v_mul_f64 v[112:113], v[2:3], s[18:19]
	s_mov_b32 s39, 0x3feca52d
	v_add_f64 v[94:95], v[10:11], v[94:95]
	v_add_f64 v[92:93], v[10:11], v[92:93]
	;; [unrolled: 1-line block ×3, first 2 shown]
	v_fma_f64 v[145:146], v[139:140], s[28:29], -v[143:144]
	s_mov_b32 s38, s44
	v_mul_f64 v[116:117], v[0:1], s[18:19]
	v_mul_f64 v[2:3], v[2:3], s[14:15]
	s_mov_b32 s37, 0x3fd71e95
	s_mov_b32 s36, s52
	v_fma_f64 v[102:103], v[127:128], s[10:11], v[100:101]
	v_fma_f64 v[100:101], v[127:128], s[10:11], -v[100:101]
	v_add_f64 v[98:99], v[8:9], v[98:99]
	v_add_f64 v[96:97], v[8:9], v[96:97]
	v_fma_f64 v[106:107], v[125:126], s[24:25], -v[104:105]
	v_fma_f64 v[104:105], v[125:126], s[24:25], v[104:105]
	v_fma_f64 v[110:111], v[127:128], s[24:25], v[108:109]
	v_fma_f64 v[108:109], v[127:128], s[24:25], -v[108:109]
	v_mul_f64 v[0:1], v[0:1], s[14:15]
	v_add_f64 v[163:164], v[22:23], -v[62:63]
	v_add_f64 v[161:162], v[20:21], -v[60:61]
	v_fma_f64 v[114:115], v[125:126], s[20:21], -v[112:113]
	v_fma_f64 v[112:113], v[125:126], s[20:21], v[112:113]
	s_mov_b32 s57, 0x3fc7851a
	s_mov_b32 s56, s14
	;; [unrolled: 1-line block ×3, first 2 shown]
	v_add_f64 v[6:7], v[145:146], v[6:7]
	v_mul_f64 v[145:146], v[151:152], s[34:35]
	v_fma_f64 v[118:119], v[127:128], s[20:21], v[116:117]
	v_fma_f64 v[116:117], v[127:128], s[20:21], -v[116:117]
	v_fma_f64 v[120:121], v[125:126], s[16:17], -v[2:3]
	v_fma_f64 v[2:3], v[125:126], s[16:17], v[2:3]
	v_add_f64 v[102:103], v[10:11], v[102:103]
	v_add_f64 v[100:101], v[10:11], v[100:101]
	s_mov_b32 s50, s46
	v_add_f64 v[175:176], v[30:31], -v[66:67]
	v_add_f64 v[106:107], v[8:9], v[106:107]
	v_add_f64 v[104:105], v[8:9], v[104:105]
	;; [unrolled: 1-line block ×4, first 2 shown]
	v_fma_f64 v[122:123], v[127:128], s[16:17], v[0:1]
	v_fma_f64 v[0:1], v[127:128], s[16:17], -v[0:1]
	v_mul_f64 v[159:160], v[161:162], s[22:23]
	v_add_f64 v[114:115], v[8:9], v[114:115]
	v_add_f64 v[112:113], v[8:9], v[112:113]
	v_add_f64 v[173:174], v[28:29], -v[64:65]
	s_mov_b32 s55, 0x3fe9895b
	s_mov_b32 s54, s22
	v_add_f64 v[185:186], v[24:25], v[40:41]
	v_fma_f64 v[153:154], v[137:138], s[30:31], v[145:146]
	v_add_f64 v[118:119], v[10:11], v[118:119]
	v_add_f64 v[116:117], v[10:11], v[116:117]
	;; [unrolled: 1-line block ×4, first 2 shown]
	v_add_f64 v[187:188], v[40:41], -v[24:25]
	s_mov_b32 s49, 0x3fefdd0d
	s_mov_b32 s48, s34
	v_add_f64 v[197:198], v[32:33], v[48:49]
	v_add_f64 v[199:200], v[48:49], -v[32:33]
	v_add_f64 v[213:214], v[36:37], v[56:57]
	v_add_f64 v[215:216], v[56:57], -v[36:37]
	v_add_f64 v[223:224], v[44:45], v[52:53]
	v_add_f64 v[122:123], v[10:11], v[122:123]
	;; [unrolled: 1-line block ×3, first 2 shown]
	v_add_f64 v[221:222], v[52:53], -v[44:45]
	s_barrier
	v_mul_f64 v[171:172], v[173:174], s[14:15]
	buffer_gl0_inv
	v_add_f64 v[76:77], v[153:154], v[76:77]
	v_fma_f64 v[153:154], v[139:140], s[30:31], -v[147:148]
	v_mul_f64 v[183:184], v[187:188], s[42:43]
	v_mul_f64 v[195:196], v[199:200], s[40:41]
	;; [unrolled: 1-line block ×5, first 2 shown]
	v_add_f64 v[78:79], v[153:154], v[78:79]
	v_mul_f64 v[153:154], v[151:152], s[22:23]
	v_fma_f64 v[155:156], v[137:138], s[24:25], -v[153:154]
	v_fma_f64 v[153:154], v[137:138], s[24:25], v[153:154]
	v_add_f64 v[82:83], v[155:156], v[82:83]
	v_mul_f64 v[155:156], v[149:150], s[22:23]
	v_add_f64 v[80:81], v[153:154], v[80:81]
	v_fma_f64 v[153:154], v[139:140], s[24:25], -v[155:156]
	v_fma_f64 v[157:158], v[139:140], s[24:25], v[155:156]
	v_add_f64 v[84:85], v[153:154], v[84:85]
	v_mul_f64 v[153:154], v[151:152], s[14:15]
	v_add_f64 v[86:87], v[157:158], v[86:87]
	;; [unrolled: 5-line block ×7, first 2 shown]
	v_fma_f64 v[153:154], v[139:140], s[10:11], -v[155:156]
	v_fma_f64 v[157:158], v[139:140], s[10:11], v[155:156]
	v_add_f64 v[108:109], v[153:154], v[108:109]
	v_mul_f64 v[153:154], v[151:152], s[38:39]
	v_mul_f64 v[151:152], v[151:152], s[36:37]
	v_add_f64 v[110:111], v[157:158], v[110:111]
	v_fma_f64 v[155:156], v[137:138], s[8:9], -v[153:154]
	v_fma_f64 v[153:154], v[137:138], s[8:9], v[153:154]
	v_add_f64 v[114:115], v[155:156], v[114:115]
	v_mul_f64 v[155:156], v[149:150], s[38:39]
	v_add_f64 v[112:113], v[153:154], v[112:113]
	v_mul_f64 v[149:150], v[149:150], s[36:37]
	v_fma_f64 v[153:154], v[139:140], s[8:9], -v[155:156]
	v_fma_f64 v[157:158], v[139:140], s[8:9], v[155:156]
	v_mul_f64 v[155:156], v[161:162], s[44:45]
	v_add_f64 v[116:117], v[153:154], v[116:117]
	v_fma_f64 v[153:154], v[137:138], s[2:3], -v[151:152]
	v_fma_f64 v[151:152], v[137:138], s[2:3], v[151:152]
	v_add_f64 v[118:119], v[157:158], v[118:119]
	v_add_f64 v[120:121], v[153:154], v[120:121]
	v_fma_f64 v[153:154], v[139:140], s[2:3], v[149:150]
	v_fma_f64 v[149:150], v[139:140], s[2:3], -v[149:150]
	v_add_f64 v[2:3], v[151:152], v[2:3]
	v_add_f64 v[151:152], v[22:23], v[62:63]
	;; [unrolled: 1-line block ×5, first 2 shown]
	v_mul_f64 v[153:154], v[163:164], s[44:45]
	v_fma_f64 v[157:158], v[149:150], s[8:9], v[153:154]
	v_add_f64 v[4:5], v[157:158], v[4:5]
	v_fma_f64 v[157:158], v[151:152], s[8:9], -v[155:156]
	v_add_f64 v[6:7], v[157:158], v[6:7]
	v_mul_f64 v[157:158], v[163:164], s[22:23]
	v_fma_f64 v[165:166], v[149:150], s[24:25], v[157:158]
	v_add_f64 v[76:77], v[165:166], v[76:77]
	v_fma_f64 v[165:166], v[151:152], s[24:25], -v[159:160]
	v_add_f64 v[78:79], v[165:166], v[78:79]
	v_mul_f64 v[165:166], v[163:164], s[56:57]
	v_fma_f64 v[167:168], v[149:150], s[16:17], -v[165:166]
	v_fma_f64 v[165:166], v[149:150], s[16:17], v[165:166]
	v_add_f64 v[82:83], v[167:168], v[82:83]
	v_mul_f64 v[167:168], v[161:162], s[56:57]
	v_add_f64 v[80:81], v[165:166], v[80:81]
	v_fma_f64 v[165:166], v[151:152], s[16:17], -v[167:168]
	v_fma_f64 v[169:170], v[151:152], s[16:17], v[167:168]
	v_add_f64 v[84:85], v[165:166], v[84:85]
	v_mul_f64 v[165:166], v[163:164], s[40:41]
	v_add_f64 v[86:87], v[169:170], v[86:87]
	;; [unrolled: 5-line block ×7, first 2 shown]
	v_fma_f64 v[165:166], v[151:152], s[2:3], -v[167:168]
	v_fma_f64 v[169:170], v[151:152], s[2:3], v[167:168]
	v_add_f64 v[108:109], v[165:166], v[108:109]
	v_mul_f64 v[165:166], v[163:164], s[34:35]
	v_mul_f64 v[163:164], v[163:164], s[18:19]
	v_add_f64 v[110:111], v[169:170], v[110:111]
	v_fma_f64 v[167:168], v[149:150], s[30:31], -v[165:166]
	v_fma_f64 v[165:166], v[149:150], s[30:31], v[165:166]
	v_add_f64 v[114:115], v[167:168], v[114:115]
	v_mul_f64 v[167:168], v[161:162], s[34:35]
	v_add_f64 v[112:113], v[165:166], v[112:113]
	v_mul_f64 v[161:162], v[161:162], s[18:19]
	v_fma_f64 v[165:166], v[151:152], s[30:31], -v[167:168]
	v_fma_f64 v[169:170], v[151:152], s[30:31], v[167:168]
	v_mul_f64 v[167:168], v[173:174], s[34:35]
	v_add_f64 v[116:117], v[165:166], v[116:117]
	v_fma_f64 v[165:166], v[149:150], s[20:21], -v[163:164]
	v_fma_f64 v[163:164], v[149:150], s[20:21], v[163:164]
	v_add_f64 v[118:119], v[169:170], v[118:119]
	v_add_f64 v[120:121], v[165:166], v[120:121]
	v_fma_f64 v[165:166], v[151:152], s[20:21], v[161:162]
	v_fma_f64 v[161:162], v[151:152], s[20:21], -v[161:162]
	v_add_f64 v[2:3], v[163:164], v[2:3]
	v_add_f64 v[163:164], v[30:31], v[66:67]
	;; [unrolled: 1-line block ×5, first 2 shown]
	v_mul_f64 v[165:166], v[175:176], s[34:35]
	v_fma_f64 v[169:170], v[161:162], s[30:31], v[165:166]
	v_add_f64 v[4:5], v[169:170], v[4:5]
	v_fma_f64 v[169:170], v[163:164], s[30:31], -v[167:168]
	v_add_f64 v[6:7], v[169:170], v[6:7]
	v_mul_f64 v[169:170], v[175:176], s[14:15]
	v_fma_f64 v[177:178], v[161:162], s[16:17], v[169:170]
	v_add_f64 v[76:77], v[177:178], v[76:77]
	v_fma_f64 v[177:178], v[163:164], s[16:17], -v[171:172]
	v_add_f64 v[78:79], v[177:178], v[78:79]
	v_mul_f64 v[177:178], v[175:176], s[40:41]
	v_fma_f64 v[179:180], v[161:162], s[10:11], -v[177:178]
	v_fma_f64 v[177:178], v[161:162], s[10:11], v[177:178]
	v_add_f64 v[82:83], v[179:180], v[82:83]
	v_mul_f64 v[179:180], v[173:174], s[40:41]
	v_add_f64 v[80:81], v[177:178], v[80:81]
	v_fma_f64 v[177:178], v[163:164], s[10:11], -v[179:180]
	v_fma_f64 v[181:182], v[163:164], s[10:11], v[179:180]
	v_add_f64 v[84:85], v[177:178], v[84:85]
	v_mul_f64 v[177:178], v[175:176], s[36:37]
	v_add_f64 v[86:87], v[181:182], v[86:87]
	;; [unrolled: 5-line block ×7, first 2 shown]
	v_fma_f64 v[177:178], v[163:164], s[20:21], -v[179:180]
	v_fma_f64 v[181:182], v[163:164], s[20:21], v[179:180]
	v_add_f64 v[108:109], v[177:178], v[108:109]
	v_mul_f64 v[177:178], v[175:176], s[54:55]
	v_mul_f64 v[175:176], v[175:176], s[50:51]
	v_add_f64 v[110:111], v[181:182], v[110:111]
	v_fma_f64 v[179:180], v[161:162], s[24:25], -v[177:178]
	v_fma_f64 v[177:178], v[161:162], s[24:25], v[177:178]
	v_add_f64 v[114:115], v[179:180], v[114:115]
	v_mul_f64 v[179:180], v[173:174], s[54:55]
	v_add_f64 v[112:113], v[177:178], v[112:113]
	v_mul_f64 v[173:174], v[173:174], s[50:51]
	v_fma_f64 v[177:178], v[163:164], s[24:25], -v[179:180]
	v_fma_f64 v[181:182], v[163:164], s[24:25], v[179:180]
	v_add_f64 v[179:180], v[42:43], -v[26:27]
	v_add_f64 v[116:117], v[177:178], v[116:117]
	v_fma_f64 v[177:178], v[161:162], s[28:29], -v[175:176]
	v_fma_f64 v[175:176], v[161:162], s[28:29], v[175:176]
	v_add_f64 v[118:119], v[181:182], v[118:119]
	v_add_f64 v[120:121], v[177:178], v[120:121]
	v_fma_f64 v[177:178], v[163:164], s[28:29], v[173:174]
	v_fma_f64 v[173:174], v[163:164], s[28:29], -v[173:174]
	v_add_f64 v[2:3], v[175:176], v[2:3]
	v_mul_f64 v[175:176], v[187:188], s[26:27]
	v_add_f64 v[122:123], v[177:178], v[122:123]
	v_add_f64 v[0:1], v[173:174], v[0:1]
	v_mul_f64 v[173:174], v[185:186], s[10:11]
	v_add_f64 v[177:178], v[26:27], v[42:43]
	v_fma_f64 v[181:182], v[179:180], s[26:27], v[173:174]
	v_add_f64 v[4:5], v[181:182], v[4:5]
	v_fma_f64 v[181:182], v[177:178], s[10:11], -v[175:176]
	v_add_f64 v[6:7], v[181:182], v[6:7]
	v_mul_f64 v[181:182], v[185:186], s[20:21]
	v_fma_f64 v[189:190], v[179:180], s[42:43], v[181:182]
	v_add_f64 v[76:77], v[189:190], v[76:77]
	v_fma_f64 v[189:190], v[177:178], s[20:21], -v[183:184]
	v_add_f64 v[78:79], v[189:190], v[78:79]
	v_mul_f64 v[189:190], v[185:186], s[28:29]
	v_fma_f64 v[191:192], v[179:180], s[46:47], v[189:190]
	v_fma_f64 v[189:190], v[179:180], s[50:51], v[189:190]
	v_add_f64 v[82:83], v[191:192], v[82:83]
	v_mul_f64 v[191:192], v[187:188], s[50:51]
	v_add_f64 v[80:81], v[189:190], v[80:81]
	v_fma_f64 v[189:190], v[177:178], s[28:29], -v[191:192]
	v_fma_f64 v[193:194], v[177:178], s[28:29], v[191:192]
	v_add_f64 v[84:85], v[189:190], v[84:85]
	v_mul_f64 v[189:190], v[185:186], s[8:9]
	v_add_f64 v[86:87], v[193:194], v[86:87]
	v_fma_f64 v[191:192], v[179:180], s[38:39], v[189:190]
	v_fma_f64 v[189:190], v[179:180], s[44:45], v[189:190]
	v_add_f64 v[90:91], v[191:192], v[90:91]
	v_mul_f64 v[191:192], v[187:188], s[44:45]
	v_add_f64 v[88:89], v[189:190], v[88:89]
	v_fma_f64 v[189:190], v[177:178], s[8:9], -v[191:192]
	v_fma_f64 v[193:194], v[177:178], s[8:9], v[191:192]
	v_add_f64 v[92:93], v[189:190], v[92:93]
	v_mul_f64 v[189:190], v[185:186], s[16:17]
	v_add_f64 v[94:95], v[193:194], v[94:95]
	;; [unrolled: 10-line block ×3, first 2 shown]
	v_fma_f64 v[191:192], v[179:180], s[34:35], v[189:190]
	v_fma_f64 v[189:190], v[179:180], s[48:49], v[189:190]
	v_add_f64 v[106:107], v[191:192], v[106:107]
	v_mul_f64 v[191:192], v[187:188], s[48:49]
	v_add_f64 v[104:105], v[189:190], v[104:105]
	v_fma_f64 v[189:190], v[177:178], s[30:31], -v[191:192]
	v_fma_f64 v[193:194], v[177:178], s[30:31], v[191:192]
	v_add_f64 v[108:109], v[189:190], v[108:109]
	v_mul_f64 v[189:190], v[185:186], s[2:3]
	v_mul_f64 v[185:186], v[185:186], s[24:25]
	v_add_f64 v[110:111], v[193:194], v[110:111]
	v_fma_f64 v[191:192], v[179:180], s[36:37], v[189:190]
	v_fma_f64 v[189:190], v[179:180], s[52:53], v[189:190]
	v_add_f64 v[114:115], v[191:192], v[114:115]
	v_mul_f64 v[191:192], v[187:188], s[52:53]
	v_add_f64 v[112:113], v[189:190], v[112:113]
	v_mul_f64 v[187:188], v[187:188], s[22:23]
	v_fma_f64 v[189:190], v[177:178], s[2:3], -v[191:192]
	v_fma_f64 v[193:194], v[177:178], s[2:3], v[191:192]
	v_add_f64 v[191:192], v[50:51], -v[34:35]
	v_add_f64 v[116:117], v[189:190], v[116:117]
	v_fma_f64 v[189:190], v[179:180], s[54:55], v[185:186]
	v_fma_f64 v[185:186], v[179:180], s[22:23], v[185:186]
	v_add_f64 v[118:119], v[193:194], v[118:119]
	v_add_f64 v[120:121], v[189:190], v[120:121]
	;; [unrolled: 1-line block ×3, first 2 shown]
	v_fma_f64 v[185:186], v[177:178], s[24:25], -v[187:188]
	v_fma_f64 v[189:190], v[177:178], s[24:25], v[187:188]
	v_mul_f64 v[187:188], v[199:200], s[22:23]
	v_add_f64 v[0:1], v[185:186], v[0:1]
	v_mul_f64 v[185:186], v[197:198], s[24:25]
	v_add_f64 v[122:123], v[189:190], v[122:123]
	v_add_f64 v[189:190], v[34:35], v[50:51]
	v_fma_f64 v[193:194], v[191:192], s[22:23], v[185:186]
	v_add_f64 v[4:5], v[193:194], v[4:5]
	v_fma_f64 v[193:194], v[189:190], s[24:25], -v[187:188]
	v_add_f64 v[6:7], v[193:194], v[6:7]
	v_mul_f64 v[193:194], v[197:198], s[10:11]
	v_fma_f64 v[201:202], v[191:192], s[40:41], v[193:194]
	v_add_f64 v[76:77], v[201:202], v[76:77]
	v_fma_f64 v[201:202], v[189:190], s[10:11], -v[195:196]
	v_add_f64 v[78:79], v[201:202], v[78:79]
	v_mul_f64 v[201:202], v[197:198], s[2:3]
	v_fma_f64 v[203:204], v[191:192], s[36:37], v[201:202]
	v_fma_f64 v[201:202], v[191:192], s[52:53], v[201:202]
	v_add_f64 v[82:83], v[203:204], v[82:83]
	v_mul_f64 v[203:204], v[199:200], s[52:53]
	v_add_f64 v[209:210], v[201:202], v[80:81]
	v_fma_f64 v[80:81], v[189:190], s[2:3], -v[203:204]
	v_fma_f64 v[205:206], v[189:190], s[2:3], v[203:204]
	v_add_f64 v[84:85], v[80:81], v[84:85]
	v_mul_f64 v[80:81], v[197:198], s[20:21]
	v_add_f64 v[86:87], v[205:206], v[86:87]
	v_mul_f64 v[205:206], v[213:214], s[8:9]
	v_fma_f64 v[201:202], v[191:192], s[42:43], v[80:81]
	v_fma_f64 v[80:81], v[191:192], s[18:19], v[80:81]
	v_add_f64 v[90:91], v[201:202], v[90:91]
	v_mul_f64 v[201:202], v[199:200], s[18:19]
	v_add_f64 v[211:212], v[80:81], v[88:89]
	v_fma_f64 v[80:81], v[189:190], s[20:21], -v[201:202]
	v_fma_f64 v[203:204], v[189:190], s[20:21], v[201:202]
	v_add_f64 v[92:93], v[80:81], v[92:93]
	v_mul_f64 v[80:81], v[197:198], s[30:31]
	v_add_f64 v[94:95], v[203:204], v[94:95]
	v_add_f64 v[203:204], v[58:59], -v[38:39]
	v_fma_f64 v[88:89], v[191:192], s[34:35], v[80:81]
	v_fma_f64 v[80:81], v[191:192], s[48:49], v[80:81]
	v_add_f64 v[98:99], v[88:89], v[98:99]
	v_mul_f64 v[88:89], v[199:200], s[48:49]
	v_add_f64 v[96:97], v[80:81], v[96:97]
	v_fma_f64 v[80:81], v[189:190], s[30:31], -v[88:89]
	v_fma_f64 v[201:202], v[189:190], s[30:31], v[88:89]
	v_add_f64 v[100:101], v[80:81], v[100:101]
	v_mul_f64 v[80:81], v[197:198], s[28:29]
	v_add_f64 v[102:103], v[201:202], v[102:103]
	v_fma_f64 v[88:89], v[191:192], s[50:51], v[80:81]
	v_fma_f64 v[80:81], v[191:192], s[46:47], v[80:81]
	v_add_f64 v[106:107], v[88:89], v[106:107]
	v_mul_f64 v[88:89], v[199:200], s[46:47]
	v_add_f64 v[104:105], v[80:81], v[104:105]
	v_fma_f64 v[80:81], v[189:190], s[28:29], -v[88:89]
	v_fma_f64 v[201:202], v[189:190], s[28:29], v[88:89]
	v_add_f64 v[108:109], v[80:81], v[108:109]
	v_mul_f64 v[80:81], v[197:198], s[16:17]
	v_add_f64 v[110:111], v[201:202], v[110:111]
	;; [unrolled: 10-line block ×3, first 2 shown]
	v_add_f64 v[201:202], v[38:39], v[58:59]
	v_fma_f64 v[88:89], v[191:192], s[44:45], v[80:81]
	v_fma_f64 v[80:81], v[191:192], s[38:39], v[80:81]
	v_add_f64 v[120:121], v[88:89], v[120:121]
	v_mul_f64 v[88:89], v[199:200], s[38:39]
	v_add_f64 v[2:3], v[80:81], v[2:3]
	v_mul_f64 v[199:200], v[215:216], s[18:19]
	v_fma_f64 v[197:198], v[189:190], s[8:9], v[88:89]
	v_fma_f64 v[80:81], v[189:190], s[8:9], -v[88:89]
	v_add_f64 v[122:123], v[197:198], v[122:123]
	v_mul_f64 v[197:198], v[213:214], s[20:21]
	v_add_f64 v[0:1], v[80:81], v[0:1]
	v_fma_f64 v[80:81], v[203:204], s[18:19], v[197:198]
	v_add_f64 v[4:5], v[80:81], v[4:5]
	v_fma_f64 v[80:81], v[201:202], s[20:21], -v[199:200]
	v_add_f64 v[6:7], v[80:81], v[6:7]
	v_fma_f64 v[80:81], v[203:204], s[38:39], v[205:206]
	v_add_f64 v[233:234], v[80:81], v[76:77]
	v_fma_f64 v[76:77], v[201:202], s[8:9], -v[207:208]
	v_add_f64 v[235:236], v[76:77], v[78:79]
	v_mul_f64 v[76:77], v[213:214], s[30:31]
	v_fma_f64 v[78:79], v[203:204], s[48:49], v[76:77]
	v_fma_f64 v[76:77], v[203:204], s[34:35], v[76:77]
	v_add_f64 v[80:81], v[78:79], v[82:83]
	v_mul_f64 v[78:79], v[215:216], s[34:35]
	v_add_f64 v[76:77], v[76:77], v[209:210]
	v_mul_f64 v[209:210], v[213:214], s[2:3]
	v_fma_f64 v[82:83], v[201:202], s[30:31], v[78:79]
	v_fma_f64 v[78:79], v[201:202], s[30:31], -v[78:79]
	v_add_f64 v[82:83], v[82:83], v[86:87]
	v_add_f64 v[78:79], v[78:79], v[84:85]
	v_mul_f64 v[84:85], v[213:214], s[24:25]
	v_fma_f64 v[86:87], v[203:204], s[22:23], v[84:85]
	v_fma_f64 v[84:85], v[203:204], s[54:55], v[84:85]
	v_add_f64 v[88:89], v[86:87], v[90:91]
	v_mul_f64 v[86:87], v[215:216], s[54:55]
	v_add_f64 v[84:85], v[84:85], v[211:212]
	v_mul_f64 v[211:212], v[215:216], s[26:27]
	v_fma_f64 v[90:91], v[201:202], s[24:25], v[86:87]
	v_fma_f64 v[86:87], v[201:202], s[24:25], -v[86:87]
	v_add_f64 v[90:91], v[90:91], v[94:95]
	v_add_f64 v[86:87], v[86:87], v[92:93]
	v_fma_f64 v[92:93], v[203:204], s[36:37], v[209:210]
	v_add_f64 v[92:93], v[92:93], v[98:99]
	v_mul_f64 v[98:99], v[215:216], s[52:53]
	v_fma_f64 v[94:95], v[201:202], s[2:3], v[98:99]
	v_fma_f64 v[98:99], v[201:202], s[2:3], -v[98:99]
	v_add_f64 v[94:95], v[94:95], v[102:103]
	v_fma_f64 v[102:103], v[203:204], s[52:53], v[209:210]
	v_mul_f64 v[209:210], v[213:214], s[16:17]
	v_add_f64 v[98:99], v[98:99], v[100:101]
	v_add_f64 v[96:97], v[102:103], v[96:97]
	v_fma_f64 v[100:101], v[203:204], s[56:57], v[209:210]
	v_add_f64 v[100:101], v[100:101], v[106:107]
	v_mul_f64 v[106:107], v[215:216], s[14:15]
	v_fma_f64 v[102:103], v[201:202], s[16:17], v[106:107]
	v_fma_f64 v[106:107], v[201:202], s[16:17], -v[106:107]
	v_add_f64 v[102:103], v[102:103], v[110:111]
	v_fma_f64 v[110:111], v[203:204], s[14:15], v[209:210]
	v_mul_f64 v[209:210], v[213:214], s[28:29]
	v_add_f64 v[106:107], v[106:107], v[108:109]
	v_add_f64 v[104:105], v[110:111], v[104:105]
	v_fma_f64 v[108:109], v[203:204], s[46:47], v[209:210]
	v_add_f64 v[108:109], v[108:109], v[114:115]
	v_mul_f64 v[114:115], v[215:216], s[50:51]
	v_add_f64 v[215:216], v[54:55], -v[46:47]
	v_fma_f64 v[110:111], v[201:202], s[28:29], v[114:115]
	v_fma_f64 v[114:115], v[201:202], s[28:29], -v[114:115]
	v_add_f64 v[110:111], v[110:111], v[118:119]
	v_fma_f64 v[118:119], v[203:204], s[50:51], v[209:210]
	v_mul_f64 v[209:210], v[213:214], s[10:11]
	v_add_f64 v[114:115], v[114:115], v[116:117]
	v_add_f64 v[213:214], v[46:47], v[54:55]
	;; [unrolled: 1-line block ×3, first 2 shown]
	v_fma_f64 v[116:117], v[203:204], s[40:41], v[209:210]
	v_fma_f64 v[118:119], v[201:202], s[10:11], v[211:212]
	v_add_f64 v[116:117], v[116:117], v[120:121]
	v_fma_f64 v[120:121], v[203:204], s[26:27], v[209:210]
	v_mul_f64 v[209:210], v[223:224], s[16:17]
	v_add_f64 v[118:119], v[118:119], v[122:123]
	v_add_f64 v[120:121], v[120:121], v[2:3]
	v_fma_f64 v[2:3], v[201:202], s[10:11], -v[211:212]
	v_mul_f64 v[211:212], v[221:222], s[14:15]
	v_add_f64 v[122:123], v[2:3], v[0:1]
	v_fma_f64 v[0:1], v[215:216], s[14:15], v[209:210]
	v_fma_f64 v[2:3], v[213:214], s[16:17], -v[211:212]
	v_add_f64 v[0:1], v[0:1], v[4:5]
	v_fma_f64 v[4:5], v[215:216], s[36:37], v[217:218]
	v_add_f64 v[2:3], v[2:3], v[6:7]
	v_fma_f64 v[6:7], v[213:214], s[2:3], -v[219:220]
	v_add_f64 v[4:5], v[4:5], v[233:234]
	v_mul_f64 v[233:234], v[223:224], s[20:21]
	v_add_f64 v[6:7], v[6:7], v[235:236]
	v_fma_f64 v[235:236], v[215:216], s[42:43], v[233:234]
	v_fma_f64 v[233:234], v[215:216], s[18:19], v[233:234]
	v_add_f64 v[80:81], v[235:236], v[80:81]
	v_mul_f64 v[235:236], v[221:222], s[18:19]
	v_add_f64 v[76:77], v[233:234], v[76:77]
	v_fma_f64 v[233:234], v[213:214], s[20:21], -v[235:236]
	v_fma_f64 v[237:238], v[213:214], s[20:21], v[235:236]
	v_add_f64 v[78:79], v[233:234], v[78:79]
	v_mul_f64 v[233:234], v[223:224], s[28:29]
	v_add_f64 v[82:83], v[237:238], v[82:83]
	v_fma_f64 v[235:236], v[215:216], s[46:47], v[233:234]
	v_fma_f64 v[233:234], v[215:216], s[50:51], v[233:234]
	v_add_f64 v[88:89], v[235:236], v[88:89]
	v_mul_f64 v[235:236], v[221:222], s[50:51]
	v_add_f64 v[84:85], v[233:234], v[84:85]
	v_fma_f64 v[233:234], v[213:214], s[28:29], -v[235:236]
	v_fma_f64 v[237:238], v[213:214], s[28:29], v[235:236]
	;; [unrolled: 10-line block ×4, first 2 shown]
	v_add_f64 v[106:107], v[233:234], v[106:107]
	v_mul_f64 v[233:234], v[223:224], s[10:11]
	v_mul_f64 v[223:224], v[223:224], s[30:31]
	v_add_f64 v[102:103], v[237:238], v[102:103]
	v_fma_f64 v[235:236], v[215:216], s[40:41], v[233:234]
	v_fma_f64 v[233:234], v[215:216], s[26:27], v[233:234]
	v_add_f64 v[108:109], v[235:236], v[108:109]
	v_mul_f64 v[235:236], v[221:222], s[26:27]
	v_add_f64 v[112:113], v[233:234], v[112:113]
	v_mul_f64 v[221:222], v[221:222], s[48:49]
	v_fma_f64 v[233:234], v[213:214], s[10:11], -v[235:236]
	v_fma_f64 v[237:238], v[213:214], s[10:11], v[235:236]
	v_add_f64 v[114:115], v[233:234], v[114:115]
	v_fma_f64 v[233:234], v[215:216], s[34:35], v[223:224]
	v_fma_f64 v[223:224], v[215:216], s[48:49], v[223:224]
	v_add_f64 v[110:111], v[237:238], v[110:111]
	v_add_f64 v[116:117], v[233:234], v[116:117]
	v_fma_f64 v[233:234], v[213:214], s[30:31], v[221:222]
	v_fma_f64 v[221:222], v[213:214], s[30:31], -v[221:222]
	v_add_f64 v[120:121], v[223:224], v[120:121]
	v_add_f64 v[118:119], v[233:234], v[118:119]
	;; [unrolled: 1-line block ×3, first 2 shown]
	v_mul_lo_u16 v221, v230, 17
	s_and_saveexec_b32 s33, vcc_lo
	s_cbranch_execz .LBB0_7
; %bb.6:
	v_add_f64 v[14:15], v[14:15], v[10:11]
	v_add_f64 v[12:13], v[12:13], v[8:9]
	;; [unrolled: 1-line block ×4, first 2 shown]
	v_mul_f64 v[16:17], v[127:128], s[28:29]
	v_mul_f64 v[18:19], v[125:126], s[28:29]
	v_add_f64 v[14:15], v[22:23], v[14:15]
	v_add_f64 v[12:13], v[20:21], v[12:13]
	v_mul_f64 v[20:21], v[127:128], s[2:3]
	v_mul_f64 v[22:23], v[125:126], s[2:3]
	v_add_f64 v[16:17], v[135:136], v[16:17]
	v_add_f64 v[18:19], v[18:19], -v[133:134]
	v_add_f64 v[14:15], v[30:31], v[14:15]
	v_add_f64 v[12:13], v[28:29], v[12:13]
	;; [unrolled: 1-line block ×3, first 2 shown]
	v_add_f64 v[22:23], v[22:23], -v[129:130]
	v_mul_f64 v[28:29], v[139:140], s[30:31]
	v_mul_f64 v[30:31], v[137:138], s[30:31]
	v_add_f64 v[16:17], v[10:11], v[16:17]
	v_add_f64 v[18:19], v[8:9], v[18:19]
	;; [unrolled: 1-line block ×4, first 2 shown]
	v_mul_f64 v[40:41], v[139:140], s[28:29]
	v_mul_f64 v[42:43], v[137:138], s[28:29]
	v_add_f64 v[10:11], v[10:11], v[20:21]
	v_add_f64 v[8:9], v[8:9], v[22:23]
	;; [unrolled: 1-line block ×3, first 2 shown]
	v_add_f64 v[30:31], v[30:31], -v[145:146]
	v_mul_f64 v[20:21], v[161:162], s[30:31]
	v_mul_f64 v[22:23], v[163:164], s[30:31]
	v_add_f64 v[14:15], v[50:51], v[14:15]
	v_add_f64 v[12:13], v[48:49], v[12:13]
	v_mul_f64 v[48:49], v[149:150], s[8:9]
	v_mul_f64 v[50:51], v[151:152], s[8:9]
	v_add_f64 v[40:41], v[143:144], v[40:41]
	v_add_f64 v[42:43], v[42:43], -v[141:142]
	v_add_f64 v[16:17], v[28:29], v[16:17]
	v_add_f64 v[18:19], v[30:31], v[18:19]
	v_mul_f64 v[28:29], v[179:180], s[26:27]
	v_mul_f64 v[30:31], v[177:178], s[10:11]
	v_add_f64 v[22:23], v[167:168], v[22:23]
	v_add_f64 v[20:21], v[20:21], -v[165:166]
	v_add_f64 v[14:15], v[58:59], v[14:15]
	v_add_f64 v[12:13], v[56:57], v[12:13]
	v_add_f64 v[48:49], v[48:49], -v[153:154]
	v_add_f64 v[50:51], v[155:156], v[50:51]
	v_add_f64 v[10:11], v[40:41], v[10:11]
	;; [unrolled: 1-line block ×3, first 2 shown]
	v_add_f64 v[28:29], v[173:174], -v[28:29]
	v_add_f64 v[30:31], v[30:31], v[175:176]
	v_add_f64 v[14:15], v[54:55], v[14:15]
	;; [unrolled: 1-line block ×3, first 2 shown]
	v_mul_f64 v[52:53], v[149:150], s[24:25]
	v_mul_f64 v[54:55], v[151:152], s[24:25]
	v_add_f64 v[10:11], v[50:51], v[10:11]
	v_add_f64 v[8:9], v[48:49], v[8:9]
	;; [unrolled: 1-line block ×4, first 2 shown]
	v_mul_f64 v[44:45], v[161:162], s[16:17]
	v_mul_f64 v[46:47], v[163:164], s[16:17]
	v_add_f64 v[54:55], v[159:160], v[54:55]
	v_add_f64 v[52:53], v[52:53], -v[157:158]
	v_add_f64 v[10:11], v[22:23], v[10:11]
	v_add_f64 v[8:9], v[20:21], v[8:9]
	v_mul_f64 v[20:21], v[203:204], s[18:19]
	v_mul_f64 v[22:23], v[201:202], s[20:21]
	v_add_f64 v[14:15], v[38:39], v[14:15]
	v_add_f64 v[12:13], v[36:37], v[12:13]
	v_mul_f64 v[36:37], v[179:180], s[42:43]
	v_mul_f64 v[38:39], v[177:178], s[20:21]
	v_add_f64 v[40:41], v[171:172], v[46:47]
	v_add_f64 v[42:43], v[44:45], -v[169:170]
	v_add_f64 v[16:17], v[54:55], v[16:17]
	v_add_f64 v[18:19], v[52:53], v[18:19]
	v_mul_f64 v[44:45], v[191:192], s[40:41]
	v_mul_f64 v[46:47], v[189:190], s[10:11]
	v_add_f64 v[10:11], v[30:31], v[10:11]
	v_add_f64 v[8:9], v[28:29], v[8:9]
	v_mul_f64 v[28:29], v[215:216], s[14:15]
	v_mul_f64 v[30:31], v[213:214], s[16:17]
	v_add_f64 v[22:23], v[22:23], v[199:200]
	v_add_f64 v[20:21], v[197:198], -v[20:21]
	v_add_f64 v[14:15], v[34:35], v[14:15]
	v_add_f64 v[12:13], v[32:33], v[12:13]
	v_mul_f64 v[32:33], v[191:192], s[22:23]
	v_mul_f64 v[34:35], v[189:190], s[24:25]
	v_add_f64 v[38:39], v[38:39], v[183:184]
	v_add_f64 v[36:37], v[181:182], -v[36:37]
	v_add_f64 v[16:17], v[40:41], v[16:17]
	v_add_f64 v[18:19], v[42:43], v[18:19]
	v_add_f64 v[42:43], v[193:194], -v[44:45]
	v_add_f64 v[40:41], v[46:47], v[195:196]
	v_add_f64 v[28:29], v[209:210], -v[28:29]
	v_add_f64 v[30:31], v[30:31], v[211:212]
	v_add_f64 v[14:15], v[26:27], v[14:15]
	v_add_f64 v[12:13], v[24:25], v[12:13]
	v_add_f64 v[32:33], v[185:186], -v[32:33]
	v_add_f64 v[34:35], v[34:35], v[187:188]
	v_mul_f64 v[24:25], v[203:204], s[38:39]
	v_mul_f64 v[26:27], v[201:202], s[8:9]
	v_add_f64 v[16:17], v[38:39], v[16:17]
	v_add_f64 v[18:19], v[36:37], v[18:19]
	v_mul_f64 v[36:37], v[215:216], s[36:37]
	v_mul_f64 v[38:39], v[213:214], s[2:3]
	v_add_f64 v[14:15], v[66:67], v[14:15]
	v_add_f64 v[12:13], v[64:65], v[12:13]
	;; [unrolled: 1-line block ×4, first 2 shown]
	v_add_f64 v[24:25], v[205:206], -v[24:25]
	v_add_f64 v[26:27], v[26:27], v[207:208]
	v_add_f64 v[16:17], v[40:41], v[16:17]
	;; [unrolled: 1-line block ×3, first 2 shown]
	v_add_f64 v[34:35], v[217:218], -v[36:37]
	v_add_f64 v[32:33], v[38:39], v[219:220]
	v_and_b32_e32 v36, 0xffff, v221
	v_add_f64 v[14:15], v[62:63], v[14:15]
	v_add_f64 v[12:13], v[60:61], v[12:13]
	;; [unrolled: 1-line block ×10, first 2 shown]
	v_add_lshl_u32 v20, v231, v36, 4
	v_add_f64 v[10:11], v[32:33], v[16:17]
	v_add_f64 v[8:9], v[34:35], v[18:19]
	;; [unrolled: 1-line block ×4, first 2 shown]
	ds_write_b128 v20, v[80:83] offset:48
	ds_write_b128 v20, v[88:91] offset:64
	;; [unrolled: 1-line block ×15, first 2 shown]
	ds_write_b128 v20, v[16:19]
	ds_write_b128 v20, v[0:3] offset:256
.LBB0_7:
	s_or_b32 exec_lo, exec_lo, s33
	v_lshlrev_b32_e32 v8, 5, v230
	s_load_dwordx4 s[0:3], s[0:1], 0x0
	s_waitcnt lgkmcnt(0)
	s_barrier
	buffer_gl0_inv
	s_clause 0x1
	global_load_dwordx4 v[12:15], v8, s[4:5]
	global_load_dwordx4 v[8:11], v8, s[4:5] offset:16
	v_add_lshl_u32 v168, v231, v230, 4
	ds_read_b128 v[16:19], v168 offset:272
	ds_read_b128 v[20:23], v168 offset:544
	s_mov_b32 s4, 0xe8584caa
	s_mov_b32 s5, 0x3febb67a
	;; [unrolled: 1-line block ×4, first 2 shown]
	v_lshl_add_u32 v167, v230, 4, v232
	s_waitcnt vmcnt(1) lgkmcnt(1)
	v_mul_f64 v[24:25], v[18:19], v[14:15]
	s_waitcnt vmcnt(0) lgkmcnt(0)
	v_mul_f64 v[26:27], v[22:23], v[10:11]
	v_mul_f64 v[28:29], v[16:17], v[14:15]
	v_mul_f64 v[30:31], v[20:21], v[10:11]
	v_fma_f64 v[24:25], v[16:17], v[12:13], -v[24:25]
	v_fma_f64 v[20:21], v[20:21], v[8:9], -v[26:27]
	v_fma_f64 v[26:27], v[18:19], v[12:13], v[28:29]
	v_fma_f64 v[22:23], v[22:23], v[8:9], v[30:31]
	ds_read_b128 v[16:19], v168
	v_add_f64 v[28:29], v[24:25], v[20:21]
	s_waitcnt lgkmcnt(0)
	v_add_f64 v[32:33], v[16:17], v[24:25]
	v_add_f64 v[30:31], v[26:27], v[22:23]
	v_add_f64 v[34:35], v[26:27], -v[22:23]
	v_add_f64 v[26:27], v[18:19], v[26:27]
	v_add_f64 v[36:37], v[24:25], -v[20:21]
	v_fma_f64 v[28:29], v[28:29], -0.5, v[16:17]
	v_add_f64 v[16:17], v[32:33], v[20:21]
	v_fma_f64 v[30:31], v[30:31], -0.5, v[18:19]
	v_add_f64 v[18:19], v[26:27], v[22:23]
	v_fma_f64 v[24:25], v[34:35], s[4:5], v[28:29]
	v_fma_f64 v[20:21], v[34:35], s[8:9], v[28:29]
	;; [unrolled: 1-line block ×4, first 2 shown]
	ds_write_b128 v167, v[16:19]
	ds_write_b128 v167, v[24:27] offset:272
	ds_write_b128 v167, v[20:23] offset:544
	s_waitcnt lgkmcnt(0)
	s_barrier
	buffer_gl0_inv
	s_and_saveexec_b32 s8, vcc_lo
	s_cbranch_execz .LBB0_9
; %bb.8:
	global_load_dwordx4 v[28:31], v226, s[6:7] offset:816
	s_add_u32 s4, s6, 0x330
	s_addc_u32 s5, s7, 0
	s_clause 0x7
	global_load_dwordx4 v[32:35], v226, s[4:5] offset:48
	global_load_dwordx4 v[36:39], v226, s[4:5] offset:96
	;; [unrolled: 1-line block ×8, first 2 shown]
	ds_read_b128 v[64:67], v167
	ds_read_b128 v[68:71], v167 offset:48
	ds_read_b128 v[72:75], v167 offset:96
	s_waitcnt vmcnt(7) lgkmcnt(1)
	v_mul_f64 v[127:128], v[70:71], v[34:35]
	v_mul_f64 v[34:35], v[68:69], v[34:35]
	;; [unrolled: 1-line block ×4, first 2 shown]
	v_fma_f64 v[68:69], v[68:69], v[32:33], -v[127:128]
	v_fma_f64 v[70:71], v[70:71], v[32:33], v[34:35]
	ds_read_b128 v[32:35], v167 offset:192
	v_fma_f64 v[64:65], v[64:65], v[28:29], -v[125:126]
	v_fma_f64 v[66:67], v[66:67], v[28:29], v[30:31]
	ds_read_b128 v[28:31], v167 offset:144
	s_waitcnt vmcnt(6) lgkmcnt(2)
	v_mul_f64 v[125:126], v[74:75], v[38:39]
	v_mul_f64 v[38:39], v[72:73], v[38:39]
	s_waitcnt vmcnt(5) lgkmcnt(0)
	v_mul_f64 v[127:128], v[30:31], v[42:43]
	v_mul_f64 v[42:43], v[28:29], v[42:43]
	v_fma_f64 v[72:73], v[72:73], v[36:37], -v[125:126]
	v_fma_f64 v[74:75], v[74:75], v[36:37], v[38:39]
	ds_read_b128 v[36:39], v167 offset:240
	s_waitcnt vmcnt(4)
	v_mul_f64 v[125:126], v[34:35], v[46:47]
	v_mul_f64 v[46:47], v[32:33], v[46:47]
	v_fma_f64 v[28:29], v[28:29], v[40:41], -v[127:128]
	v_fma_f64 v[30:31], v[30:31], v[40:41], v[42:43]
	ds_read_b128 v[40:43], v167 offset:288
	s_waitcnt vmcnt(3) lgkmcnt(1)
	v_mul_f64 v[129:130], v[38:39], v[50:51]
	v_mul_f64 v[50:51], v[36:37], v[50:51]
	v_fma_f64 v[32:33], v[32:33], v[44:45], -v[125:126]
	v_fma_f64 v[34:35], v[34:35], v[44:45], v[46:47]
	ds_read_b128 v[44:47], v167 offset:336
	global_load_dwordx4 v[125:128], v226, s[4:5] offset:432
	v_fma_f64 v[36:37], v[36:37], v[48:49], -v[129:130]
	v_fma_f64 v[38:39], v[38:39], v[48:49], v[50:51]
	s_waitcnt vmcnt(3) lgkmcnt(1)
	v_mul_f64 v[48:49], v[42:43], v[54:55]
	v_mul_f64 v[50:51], v[40:41], v[54:55]
	s_waitcnt vmcnt(2) lgkmcnt(0)
	v_mul_f64 v[129:130], v[46:47], v[58:59]
	v_mul_f64 v[58:59], v[44:45], v[58:59]
	v_fma_f64 v[40:41], v[40:41], v[52:53], -v[48:49]
	v_fma_f64 v[42:43], v[42:43], v[52:53], v[50:51]
	ds_read_b128 v[48:51], v167 offset:384
	ds_read_b128 v[52:55], v167 offset:432
	v_fma_f64 v[44:45], v[44:45], v[56:57], -v[129:130]
	v_fma_f64 v[46:47], v[46:47], v[56:57], v[58:59]
	global_load_dwordx4 v[56:59], v226, s[4:5] offset:480
	s_waitcnt vmcnt(2) lgkmcnt(1)
	v_mul_f64 v[129:130], v[50:51], v[62:63]
	v_mul_f64 v[62:63], v[48:49], v[62:63]
	v_fma_f64 v[48:49], v[48:49], v[60:61], -v[129:130]
	v_fma_f64 v[50:51], v[50:51], v[60:61], v[62:63]
	global_load_dwordx4 v[60:63], v226, s[4:5] offset:528
	s_waitcnt vmcnt(2) lgkmcnt(0)
	v_mul_f64 v[129:130], v[54:55], v[127:128]
	v_mul_f64 v[127:128], v[52:53], v[127:128]
	v_fma_f64 v[52:53], v[52:53], v[125:126], -v[129:130]
	v_fma_f64 v[54:55], v[54:55], v[125:126], v[127:128]
	ds_read_b128 v[125:128], v167 offset:480
	ds_read_b128 v[129:132], v167 offset:528
	s_waitcnt vmcnt(1) lgkmcnt(1)
	v_mul_f64 v[133:134], v[127:128], v[58:59]
	v_mul_f64 v[58:59], v[125:126], v[58:59]
	v_fma_f64 v[125:126], v[125:126], v[56:57], -v[133:134]
	v_fma_f64 v[127:128], v[127:128], v[56:57], v[58:59]
	s_waitcnt vmcnt(0) lgkmcnt(0)
	v_mul_f64 v[56:57], v[131:132], v[62:63]
	v_mul_f64 v[58:59], v[129:130], v[62:63]
	v_fma_f64 v[56:57], v[129:130], v[60:61], -v[56:57]
	v_fma_f64 v[58:59], v[131:132], v[60:61], v[58:59]
	s_clause 0x1
	global_load_dwordx4 v[60:63], v226, s[4:5] offset:576
	global_load_dwordx4 v[129:132], v226, s[4:5] offset:624
	ds_read_b128 v[133:136], v167 offset:576
	ds_read_b128 v[137:140], v167 offset:624
	s_waitcnt vmcnt(1) lgkmcnt(1)
	v_mul_f64 v[141:142], v[135:136], v[62:63]
	v_mul_f64 v[62:63], v[133:134], v[62:63]
	v_fma_f64 v[133:134], v[133:134], v[60:61], -v[141:142]
	v_fma_f64 v[135:136], v[135:136], v[60:61], v[62:63]
	s_waitcnt vmcnt(0) lgkmcnt(0)
	v_mul_f64 v[60:61], v[139:140], v[131:132]
	v_mul_f64 v[62:63], v[137:138], v[131:132]
	v_fma_f64 v[60:61], v[137:138], v[129:130], -v[60:61]
	v_fma_f64 v[62:63], v[139:140], v[129:130], v[62:63]
	s_clause 0x1
	global_load_dwordx4 v[129:132], v226, s[4:5] offset:672
	global_load_dwordx4 v[137:140], v226, s[4:5] offset:720
	ds_read_b128 v[141:144], v167 offset:672
	ds_read_b128 v[145:148], v167 offset:720
	s_waitcnt vmcnt(1) lgkmcnt(1)
	v_mul_f64 v[149:150], v[143:144], v[131:132]
	v_mul_f64 v[131:132], v[141:142], v[131:132]
	v_fma_f64 v[141:142], v[141:142], v[129:130], -v[149:150]
	v_fma_f64 v[143:144], v[143:144], v[129:130], v[131:132]
	s_waitcnt vmcnt(0) lgkmcnt(0)
	v_mul_f64 v[129:130], v[147:148], v[139:140]
	v_mul_f64 v[131:132], v[145:146], v[139:140]
	v_fma_f64 v[129:130], v[145:146], v[137:138], -v[129:130]
	v_fma_f64 v[131:132], v[147:148], v[137:138], v[131:132]
	global_load_dwordx4 v[137:140], v226, s[4:5] offset:768
	ds_read_b128 v[145:148], v167 offset:768
	s_waitcnt vmcnt(0) lgkmcnt(0)
	v_mul_f64 v[149:150], v[147:148], v[139:140]
	v_mul_f64 v[139:140], v[145:146], v[139:140]
	v_fma_f64 v[145:146], v[145:146], v[137:138], -v[149:150]
	v_fma_f64 v[147:148], v[147:148], v[137:138], v[139:140]
	ds_write_b128 v167, v[64:67]
	ds_write_b128 v167, v[68:71] offset:48
	ds_write_b128 v167, v[72:75] offset:96
	;; [unrolled: 1-line block ×16, first 2 shown]
.LBB0_9:
	s_or_b32 exec_lo, exec_lo, s8
	s_waitcnt lgkmcnt(0)
	s_barrier
	buffer_gl0_inv
	s_and_saveexec_b32 s4, vcc_lo
	s_cbranch_execz .LBB0_11
; %bb.10:
	ds_read_b128 v[16:19], v167
	ds_read_b128 v[24:27], v167 offset:48
	ds_read_b128 v[20:23], v167 offset:96
	;; [unrolled: 1-line block ×16, first 2 shown]
.LBB0_11:
	s_or_b32 exec_lo, exec_lo, s4
	s_waitcnt lgkmcnt(0)
	s_barrier
	buffer_gl0_inv
	s_and_saveexec_b32 s33, vcc_lo
	s_cbranch_execz .LBB0_13
; %bb.12:
	v_add_f64 v[131:132], v[26:27], -v[2:3]
	s_mov_b32 s4, 0xacd6c6b4
	s_mov_b32 s5, 0xbfc7851a
	v_add_f64 v[62:63], v[24:25], -v[0:1]
	v_add_f64 v[125:126], v[22:23], -v[6:7]
	v_add_f64 v[68:69], v[24:25], v[0:1]
	s_mov_b32 s14, 0x4363dd80
	s_mov_b32 s8, 0x5d8e7cdc
	;; [unrolled: 1-line block ×6, first 2 shown]
	v_add_f64 v[127:128], v[20:21], -v[4:5]
	v_add_f64 v[70:71], v[26:27], v[2:3]
	v_add_f64 v[74:75], v[82:83], -v[78:79]
	v_add_f64 v[66:67], v[20:21], v[4:5]
	s_mov_b32 s18, 0x7c9e640b
	s_mov_b32 s26, 0x910ea3b9
	;; [unrolled: 1-line block ×6, first 2 shown]
	v_mul_f64 v[30:31], v[131:132], s[4:5]
	v_add_f64 v[72:73], v[80:81], -v[76:77]
	v_add_f64 v[64:65], v[22:23], v[6:7]
	v_mul_f64 v[28:29], v[62:63], s[4:5]
	v_mul_f64 v[32:33], v[62:63], s[14:15]
	;; [unrolled: 1-line block ×3, first 2 shown]
	v_add_f64 v[147:148], v[90:91], -v[86:87]
	v_add_f64 v[143:144], v[80:81], v[76:77]
	s_mov_b32 s30, 0xeb564b22
	s_mov_b32 s10, 0x2b2883cd
	;; [unrolled: 1-line block ×4, first 2 shown]
	v_mul_f64 v[34:35], v[127:128], s[8:9]
	v_mul_f64 v[44:45], v[127:128], s[18:19]
	v_mul_f64 v[48:49], v[74:75], s[14:15]
	s_mov_b32 s11, 0x3fdc86fa
	s_mov_b32 s49, 0x3fe58eea
	;; [unrolled: 1-line block ×4, first 2 shown]
	v_add_f64 v[149:150], v[88:89], -v[84:85]
	v_add_f64 v[139:140], v[82:83], v[78:79]
	v_add_f64 v[145:146], v[96:97], v[92:93]
	v_fma_f64 v[40:41], v[68:69], s[22:23], -v[30:31]
	v_fma_f64 v[30:31], v[68:69], s[22:23], v[30:31]
	v_mul_f64 v[42:43], v[72:73], s[14:15]
	v_fma_f64 v[38:39], v[70:71], s[22:23], v[28:29]
	v_fma_f64 v[28:29], v[70:71], s[22:23], -v[28:29]
	v_fma_f64 v[46:47], v[70:71], s[26:27], v[32:33]
	v_fma_f64 v[141:142], v[66:67], s[24:25], -v[36:37]
	v_fma_f64 v[36:37], v[66:67], s[24:25], v[36:37]
	v_add_f64 v[137:138], v[88:89], v[84:85]
	v_mul_f64 v[165:166], v[72:73], s[44:45]
	v_mul_f64 v[169:170], v[131:132], s[14:15]
	;; [unrolled: 1-line block ×3, first 2 shown]
	v_fma_f64 v[50:51], v[64:65], s[24:25], v[34:35]
	v_fma_f64 v[34:35], v[64:65], s[24:25], -v[34:35]
	v_fma_f64 v[153:154], v[64:65], s[10:11], v[44:45]
	v_fma_f64 v[163:164], v[143:144], s[26:27], -v[48:49]
	s_mov_b32 s20, 0x3259b75e
	s_mov_b32 s28, 0x6c9a05f6
	;; [unrolled: 1-line block ×6, first 2 shown]
	v_add_f64 v[40:41], v[16:17], v[40:41]
	v_add_f64 v[30:31], v[16:17], v[30:31]
	s_mov_b32 s37, 0xbfe348c8
	v_add_f64 v[38:39], v[18:19], v[38:39]
	v_add_f64 v[28:29], v[18:19], v[28:29]
	;; [unrolled: 1-line block ×3, first 2 shown]
	s_mov_b32 s51, 0x3fe7a5f6
	s_mov_b32 s39, 0x3fe9895b
	;; [unrolled: 1-line block ×3, first 2 shown]
	v_add_f64 v[133:134], v[92:93], -v[96:97]
	v_add_f64 v[135:136], v[90:91], v[86:87]
	v_mul_f64 v[151:152], v[149:150], s[48:49]
	v_fma_f64 v[159:160], v[139:140], s[26:27], v[42:43]
	v_fma_f64 v[42:43], v[139:140], s[26:27], -v[42:43]
	v_fma_f64 v[48:49], v[143:144], s[26:27], v[48:49]
	v_add_f64 v[161:162], v[104:105], v[100:101]
	v_add_f64 v[155:156], v[94:95], -v[98:99]
	v_mul_f64 v[173:174], v[145:146], s[36:37]
	v_fma_f64 v[177:178], v[137:138], s[50:51], -v[157:158]
	s_mov_b32 s35, 0xbfd71e95
	s_mov_b32 s34, s8
	v_add_f64 v[60:61], v[100:101], -v[104:105]
	v_add_f64 v[40:41], v[141:142], v[40:41]
	v_add_f64 v[30:31], v[36:37], v[30:31]
	v_mul_f64 v[36:37], v[125:126], s[18:19]
	v_add_f64 v[38:39], v[50:51], v[38:39]
	v_add_f64 v[28:29], v[34:35], v[28:29]
	v_mul_f64 v[34:35], v[149:150], s[38:39]
	v_fma_f64 v[50:51], v[139:140], s[20:21], v[165:166]
	v_fma_f64 v[141:142], v[68:69], s[26:27], -v[169:170]
	v_add_f64 v[46:47], v[153:154], v[46:47]
	v_add_f64 v[129:130], v[98:99], v[94:95]
	v_mul_f64 v[171:172], v[133:134], s[28:29]
	v_fma_f64 v[175:176], v[135:136], s[50:51], v[151:152]
	v_fma_f64 v[151:152], v[135:136], s[50:51], -v[151:152]
	v_fma_f64 v[179:180], v[137:138], s[50:51], v[157:158]
	v_add_f64 v[157:158], v[102:103], -v[106:107]
	v_mul_f64 v[187:188], v[161:162], s[10:11]
	s_mov_b32 s42, 0xc61f0d01
	v_fma_f64 v[191:192], v[155:156], s[38:39], v[173:174]
	s_mov_b32 s43, 0xbfd183b1
	s_mov_b32 s41, 0xbfeca52d
	;; [unrolled: 1-line block ×3, first 2 shown]
	v_add_f64 v[58:59], v[108:109], -v[112:113]
	v_add_f64 v[40:41], v[163:164], v[40:41]
	v_add_f64 v[30:31], v[48:49], v[30:31]
	;; [unrolled: 1-line block ×5, first 2 shown]
	v_mul_f64 v[42:43], v[133:134], s[34:35]
	v_mul_f64 v[48:49], v[74:75], s[44:45]
	v_fma_f64 v[181:182], v[135:136], s[36:37], v[34:35]
	v_fma_f64 v[183:184], v[66:67], s[10:11], -v[36:37]
	v_add_f64 v[185:186], v[16:17], v[141:142]
	v_add_f64 v[46:47], v[50:51], v[46:47]
	;; [unrolled: 1-line block ×3, first 2 shown]
	v_mul_f64 v[50:51], v[60:61], s[18:19]
	v_fma_f64 v[189:190], v[129:130], s[36:37], v[171:172]
	v_fma_f64 v[171:172], v[129:130], s[36:37], -v[171:172]
	v_fma_f64 v[173:174], v[155:156], s[28:29], v[173:174]
	v_add_f64 v[159:160], v[120:121], v[116:117]
	v_fma_f64 v[32:33], v[70:71], s[26:27], -v[32:33]
	v_fma_f64 v[197:198], v[157:158], s[40:41], v[187:188]
	s_mov_b32 s16, 0x923c349f
	s_mov_b32 s17, 0xbfeec746
	;; [unrolled: 1-line block ×3, first 2 shown]
	v_add_f64 v[40:41], v[177:178], v[40:41]
	v_add_f64 v[30:31], v[179:180], v[30:31]
	v_mul_f64 v[177:178], v[147:148], s[38:39]
	v_add_f64 v[38:39], v[175:176], v[38:39]
	v_add_f64 v[28:29], v[151:152], v[28:29]
	v_add_f64 v[151:152], v[110:111], -v[114:115]
	v_mul_f64 v[175:176], v[60:61], s[4:5]
	v_fma_f64 v[179:180], v[129:130], s[24:25], v[42:43]
	v_fma_f64 v[193:194], v[143:144], s[20:21], -v[48:49]
	v_add_f64 v[183:184], v[183:184], v[185:186]
	v_add_f64 v[46:47], v[181:182], v[46:47]
	v_mul_f64 v[185:186], v[163:164], s[42:43]
	s_mov_b32 s52, s16
	v_add_f64 v[56:57], v[116:117], -v[120:121]
	v_add_f64 v[54:55], v[114:115], v[110:111]
	v_add_f64 v[141:142], v[118:119], -v[122:123]
	v_mul_f64 v[181:182], v[58:59], s[16:17]
	v_fma_f64 v[195:196], v[153:154], s[10:11], v[50:51]
	v_fma_f64 v[50:51], v[153:154], s[10:11], -v[50:51]
	v_fma_f64 v[187:188], v[157:158], s[18:19], v[187:188]
	v_fma_f64 v[44:45], v[64:65], s[10:11], -v[44:45]
	v_add_f64 v[32:33], v[18:19], v[32:33]
	v_add_f64 v[40:41], v[191:192], v[40:41]
	;; [unrolled: 1-line block ×3, first 2 shown]
	v_mul_f64 v[173:174], v[145:146], s[24:25]
	v_add_f64 v[38:39], v[189:190], v[38:39]
	v_add_f64 v[28:29], v[171:172], v[28:29]
	v_mul_f64 v[171:172], v[58:59], s[48:49]
	v_fma_f64 v[189:190], v[153:154], s[22:23], v[175:176]
	v_fma_f64 v[191:192], v[137:138], s[36:37], -v[177:178]
	v_add_f64 v[52:53], v[122:123], v[118:119]
	v_add_f64 v[183:184], v[193:194], v[183:184]
	;; [unrolled: 1-line block ×3, first 2 shown]
	v_mul_f64 v[193:194], v[159:160], s[20:21]
	v_fma_f64 v[201:202], v[151:152], s[52:53], v[185:186]
	v_mul_f64 v[179:180], v[56:57], s[30:31]
	v_fma_f64 v[185:186], v[151:152], s[16:17], v[185:186]
	v_fma_f64 v[165:166], v[139:140], s[20:21], -v[165:166]
	v_fma_f64 v[199:200], v[54:55], s[42:43], v[181:182]
	v_fma_f64 v[181:182], v[54:55], s[42:43], -v[181:182]
	v_fma_f64 v[169:170], v[68:69], s[26:27], v[169:170]
	s_mov_b32 s47, 0x3fc7851a
	s_mov_b32 s46, s4
	v_add_f64 v[32:33], v[44:45], v[32:33]
	v_add_f64 v[40:41], v[197:198], v[40:41]
	;; [unrolled: 1-line block ×3, first 2 shown]
	v_mul_f64 v[187:188], v[56:57], s[16:17]
	v_add_f64 v[38:39], v[195:196], v[38:39]
	v_add_f64 v[28:29], v[50:51], v[28:29]
	v_mul_f64 v[50:51], v[62:63], s[28:29]
	v_mul_f64 v[195:196], v[131:132], s[28:29]
	;; [unrolled: 1-line block ×3, first 2 shown]
	v_fma_f64 v[197:198], v[54:55], s[50:51], v[171:172]
	v_fma_f64 v[203:204], v[155:156], s[8:9], v[173:174]
	v_add_f64 v[183:184], v[191:192], v[183:184]
	v_add_f64 v[46:47], v[189:190], v[46:47]
	v_fma_f64 v[205:206], v[141:142], s[44:45], v[193:194]
	v_mul_f64 v[189:190], v[127:128], s[52:53]
	v_fma_f64 v[191:192], v[52:53], s[20:21], v[179:180]
	v_fma_f64 v[179:180], v[52:53], s[20:21], -v[179:180]
	v_fma_f64 v[193:194], v[141:142], s[30:31], v[193:194]
	v_mul_f64 v[207:208], v[125:126], s[52:53]
	v_fma_f64 v[209:210], v[135:136], s[36:37], -v[34:35]
	v_fma_f64 v[36:37], v[66:67], s[10:11], v[36:37]
	v_add_f64 v[169:170], v[16:17], v[169:170]
	v_add_f64 v[165:166], v[165:166], v[32:33]
	;; [unrolled: 1-line block ×4, first 2 shown]
	v_fma_f64 v[213:214], v[52:53], s[42:43], v[187:188]
	v_add_f64 v[38:39], v[199:200], v[38:39]
	v_add_f64 v[181:182], v[181:182], v[28:29]
	v_mul_f64 v[199:200], v[163:164], s[50:51]
	v_fma_f64 v[201:202], v[70:71], s[36:37], v[50:51]
	v_fma_f64 v[211:212], v[68:69], s[36:37], -v[195:196]
	v_fma_f64 v[215:216], v[157:158], s[46:47], v[44:45]
	v_fma_f64 v[50:51], v[70:71], s[36:37], -v[50:51]
	v_add_f64 v[183:184], v[203:204], v[183:184]
	v_add_f64 v[46:47], v[197:198], v[46:47]
	v_mul_f64 v[217:218], v[62:63], s[16:17]
	s_mov_b32 s55, 0xbfe58eea
	s_mov_b32 s54, s48
	;; [unrolled: 1-line block ×4, first 2 shown]
	v_mul_f64 v[203:204], v[72:73], s[34:35]
	v_fma_f64 v[42:43], v[129:130], s[24:25], -v[42:43]
	v_fma_f64 v[219:220], v[64:65], s[42:43], v[189:190]
	v_fma_f64 v[189:190], v[64:65], s[42:43], -v[189:190]
	v_add_f64 v[165:166], v[209:210], v[165:166]
	v_add_f64 v[28:29], v[205:206], v[40:41]
	v_fma_f64 v[40:41], v[68:69], s[36:37], v[195:196]
	v_add_f64 v[32:33], v[193:194], v[185:186]
	v_add_f64 v[30:31], v[191:192], v[38:39]
	;; [unrolled: 1-line block ×3, first 2 shown]
	v_mul_f64 v[181:182], v[74:75], s[34:35]
	v_add_f64 v[179:180], v[18:19], v[201:202]
	v_fma_f64 v[185:186], v[66:67], s[42:43], -v[207:208]
	v_add_f64 v[191:192], v[16:17], v[211:212]
	v_fma_f64 v[193:194], v[151:152], s[54:55], v[199:200]
	v_add_f64 v[50:51], v[18:19], v[50:51]
	v_add_f64 v[183:184], v[215:216], v[183:184]
	;; [unrolled: 1-line block ×3, first 2 shown]
	v_fma_f64 v[46:47], v[153:154], s[22:23], -v[175:176]
	v_fma_f64 v[48:49], v[143:144], s[20:21], v[48:49]
	v_mul_f64 v[175:176], v[131:132], s[16:17]
	v_add_f64 v[36:37], v[36:37], v[169:170]
	v_fma_f64 v[201:202], v[66:67], s[42:43], v[207:208]
	v_mul_f64 v[205:206], v[127:128], s[56:57]
	v_fma_f64 v[207:208], v[70:71], s[42:43], -v[217:218]
	v_mul_f64 v[169:170], v[149:150], s[14:15]
	v_fma_f64 v[195:196], v[139:140], s[24:25], v[203:204]
	v_mul_f64 v[209:210], v[147:148], s[14:15]
	v_add_f64 v[40:41], v[16:17], v[40:41]
	v_add_f64 v[42:43], v[42:43], v[165:166]
	v_fma_f64 v[177:178], v[137:138], s[36:37], v[177:178]
	v_mul_f64 v[215:216], v[72:73], s[48:49]
	v_fma_f64 v[211:212], v[143:144], s[24:25], -v[181:182]
	v_add_f64 v[179:180], v[219:220], v[179:180]
	v_fma_f64 v[181:182], v[143:144], s[24:25], v[181:182]
	v_add_f64 v[185:186], v[185:186], v[191:192]
	v_fma_f64 v[191:192], v[139:140], s[24:25], -v[203:204]
	v_add_f64 v[50:51], v[189:190], v[50:51]
	v_add_f64 v[183:184], v[193:194], v[183:184]
	v_fma_f64 v[189:190], v[70:71], s[42:43], v[217:218]
	v_mul_f64 v[193:194], v[125:126], s[56:57]
	v_mul_f64 v[197:198], v[159:160], s[42:43]
	v_fma_f64 v[203:204], v[68:69], s[42:43], -v[175:176]
	v_add_f64 v[36:37], v[48:49], v[36:37]
	v_fma_f64 v[48:49], v[54:55], s[50:51], -v[171:172]
	v_fma_f64 v[217:218], v[64:65], s[26:27], -v[205:206]
	v_add_f64 v[207:208], v[18:19], v[207:208]
	v_mul_f64 v[171:172], v[133:134], s[30:31]
	v_fma_f64 v[213:214], v[135:136], s[26:27], v[169:170]
	v_fma_f64 v[169:170], v[135:136], s[26:27], -v[169:170]
	v_add_f64 v[40:41], v[201:202], v[40:41]
	v_fma_f64 v[201:202], v[137:138], s[26:27], -v[209:210]
	v_add_f64 v[42:43], v[46:47], v[42:43]
	v_fma_f64 v[46:47], v[155:156], s[34:35], v[173:174]
	v_fma_f64 v[173:174], v[64:65], s[26:27], v[205:206]
	v_add_f64 v[179:180], v[195:196], v[179:180]
	v_mul_f64 v[195:196], v[145:146], s[20:21]
	v_add_f64 v[185:186], v[211:212], v[185:186]
	v_fma_f64 v[209:210], v[137:138], s[26:27], v[209:210]
	v_add_f64 v[50:51], v[191:192], v[50:51]
	v_mul_f64 v[191:192], v[74:75], s[48:49]
	v_add_f64 v[189:190], v[18:19], v[189:190]
	v_fma_f64 v[205:206], v[66:67], s[26:27], -v[193:194]
	v_mul_f64 v[219:220], v[149:150], s[40:41]
	v_add_f64 v[203:204], v[16:17], v[203:204]
	v_add_f64 v[36:37], v[177:178], v[36:37]
	v_fma_f64 v[222:223], v[139:140], s[50:51], -v[215:216]
	v_fma_f64 v[165:166], v[141:142], s[52:53], v[197:198]
	v_add_f64 v[207:208], v[217:218], v[207:208]
	v_fma_f64 v[177:178], v[52:53], s[42:43], -v[187:188]
	v_mul_f64 v[187:188], v[60:61], s[54:55]
	v_fma_f64 v[211:212], v[129:130], s[20:21], v[171:172]
	v_add_f64 v[40:41], v[181:182], v[40:41]
	v_mul_f64 v[181:182], v[161:162], s[50:51]
	v_add_f64 v[42:43], v[48:49], v[42:43]
	v_fma_f64 v[44:45], v[157:158], s[4:5], v[44:45]
	v_fma_f64 v[48:49], v[129:130], s[20:21], -v[171:172]
	v_add_f64 v[179:180], v[213:214], v[179:180]
	v_fma_f64 v[213:214], v[155:156], s[44:45], v[195:196]
	v_add_f64 v[185:186], v[201:202], v[185:186]
	v_fma_f64 v[195:196], v[155:156], s[30:31], v[195:196]
	v_add_f64 v[50:51], v[169:170], v[50:51]
	v_fma_f64 v[169:170], v[139:140], s[50:51], v[215:216]
	v_add_f64 v[171:172], v[173:174], v[189:190]
	v_mul_f64 v[173:174], v[147:148], s[40:41]
	v_fma_f64 v[189:190], v[143:144], s[50:51], -v[191:192]
	v_add_f64 v[201:202], v[205:206], v[203:204]
	v_add_f64 v[46:47], v[46:47], v[36:37]
	v_mul_f64 v[203:204], v[133:134], s[4:5]
	v_fma_f64 v[205:206], v[135:136], s[10:11], -v[219:220]
	v_add_f64 v[207:208], v[222:223], v[207:208]
	v_add_f64 v[36:37], v[165:166], v[183:184]
	v_mul_f64 v[165:166], v[58:59], s[4:5]
	v_fma_f64 v[183:184], v[153:154], s[50:51], v[187:188]
	v_add_f64 v[40:41], v[209:210], v[40:41]
	v_mul_f64 v[209:210], v[163:164], s[22:23]
	v_add_f64 v[42:43], v[177:178], v[42:43]
	v_fma_f64 v[177:178], v[151:152], s[48:49], v[199:200]
	v_fma_f64 v[187:188], v[153:154], s[50:51], -v[187:188]
	v_add_f64 v[179:180], v[211:212], v[179:180]
	v_fma_f64 v[211:212], v[157:158], s[48:49], v[181:182]
	v_add_f64 v[185:186], v[213:214], v[185:186]
	v_fma_f64 v[181:182], v[157:158], s[54:55], v[181:182]
	v_add_f64 v[48:49], v[48:49], v[50:51]
	v_fma_f64 v[50:51], v[135:136], s[10:11], v[219:220]
	v_add_f64 v[169:170], v[169:170], v[171:172]
	v_mul_f64 v[171:172], v[145:146], s[22:23]
	v_fma_f64 v[199:200], v[137:138], s[10:11], -v[173:174]
	v_add_f64 v[189:190], v[189:190], v[201:202]
	v_add_f64 v[44:45], v[44:45], v[46:47]
	v_mul_f64 v[213:214], v[60:61], s[30:31]
	v_fma_f64 v[175:176], v[68:69], s[42:43], v[175:176]
	v_fma_f64 v[215:216], v[129:130], s[22:23], -v[203:204]
	v_add_f64 v[205:206], v[205:206], v[207:208]
	v_mul_f64 v[46:47], v[56:57], s[18:19]
	v_fma_f64 v[201:202], v[54:55], s[22:23], v[165:166]
	v_add_f64 v[40:41], v[195:196], v[40:41]
	v_fma_f64 v[195:196], v[151:152], s[46:47], v[209:210]
	v_mul_f64 v[207:208], v[62:63], s[44:45]
	v_fma_f64 v[165:166], v[54:55], s[22:23], -v[165:166]
	v_fma_f64 v[193:194], v[66:67], s[26:27], v[193:194]
	v_add_f64 v[179:180], v[183:184], v[179:180]
	v_mul_f64 v[183:184], v[159:160], s[10:11]
	v_add_f64 v[185:186], v[211:212], v[185:186]
	v_fma_f64 v[197:198], v[141:142], s[16:17], v[197:198]
	v_add_f64 v[48:49], v[187:188], v[48:49]
	v_fma_f64 v[187:188], v[129:130], s[22:23], v[203:204]
	v_add_f64 v[50:51], v[50:51], v[169:170]
	v_mul_f64 v[169:170], v[161:162], s[20:21]
	v_fma_f64 v[203:204], v[155:156], s[46:47], v[171:172]
	v_add_f64 v[189:190], v[199:200], v[189:190]
	v_add_f64 v[44:45], v[177:178], v[44:45]
	v_fma_f64 v[177:178], v[151:152], s[4:5], v[209:210]
	v_mul_f64 v[199:200], v[58:59], s[34:35]
	v_mul_f64 v[209:210], v[131:132], s[44:45]
	v_add_f64 v[175:176], v[16:17], v[175:176]
	v_fma_f64 v[211:212], v[153:154], s[20:21], -v[213:214]
	v_add_f64 v[205:206], v[215:216], v[205:206]
	v_add_f64 v[40:41], v[181:182], v[40:41]
	v_fma_f64 v[181:182], v[52:53], s[10:11], v[46:47]
	v_fma_f64 v[215:216], v[70:71], s[20:21], v[207:208]
	v_fma_f64 v[217:218], v[52:53], s[10:11], -v[46:47]
	v_mul_f64 v[222:223], v[125:126], s[4:5]
	v_add_f64 v[179:180], v[201:202], v[179:180]
	v_fma_f64 v[201:202], v[141:142], s[40:41], v[183:184]
	v_add_f64 v[185:186], v[195:196], v[185:186]
	v_mul_f64 v[195:196], v[127:128], s[4:5]
	v_add_f64 v[48:49], v[165:166], v[48:49]
	v_fma_f64 v[165:166], v[153:154], s[20:21], v[213:214]
	v_add_f64 v[187:188], v[187:188], v[50:51]
	v_fma_f64 v[219:220], v[157:158], s[44:45], v[169:170]
	v_fma_f64 v[183:184], v[141:142], s[18:19], v[183:184]
	v_add_f64 v[189:190], v[203:204], v[189:190]
	v_mul_f64 v[203:204], v[56:57], s[28:29]
	v_fma_f64 v[191:192], v[143:144], s[50:51], v[191:192]
	v_mul_f64 v[213:214], v[163:164], s[24:25]
	v_fma_f64 v[233:234], v[68:69], s[20:21], -v[209:210]
	v_add_f64 v[175:176], v[193:194], v[175:176]
	v_fma_f64 v[193:194], v[54:55], s[24:25], -v[199:200]
	v_add_f64 v[205:206], v[211:212], v[205:206]
	v_add_f64 v[177:178], v[177:178], v[40:41]
	v_add_f64 v[40:41], v[197:198], v[44:45]
	v_mul_f64 v[211:212], v[74:75], s[52:53]
	v_add_f64 v[26:27], v[26:27], v[18:19]
	v_fma_f64 v[173:174], v[137:138], s[10:11], v[173:174]
	v_add_f64 v[46:47], v[181:182], v[179:180]
	v_mul_f64 v[179:180], v[72:73], s[52:53]
	v_fma_f64 v[181:182], v[70:71], s[20:21], -v[207:208]
	v_fma_f64 v[197:198], v[64:65], s[22:23], v[195:196]
	v_add_f64 v[207:208], v[18:19], v[215:216]
	v_add_f64 v[44:45], v[201:202], v[185:186]
	;; [unrolled: 1-line block ×3, first 2 shown]
	v_fma_f64 v[185:186], v[54:55], s[24:25], v[199:200]
	v_add_f64 v[187:188], v[165:166], v[187:188]
	v_add_f64 v[189:190], v[219:220], v[189:190]
	v_fma_f64 v[215:216], v[66:67], s[22:23], -v[222:223]
	v_mul_f64 v[217:218], v[62:63], s[40:41]
	v_fma_f64 v[165:166], v[52:53], s[36:37], v[203:204]
	v_add_f64 v[219:220], v[16:17], v[233:234]
	v_add_f64 v[175:176], v[191:192], v[175:176]
	v_fma_f64 v[191:192], v[52:53], s[36:37], -v[203:204]
	v_add_f64 v[193:194], v[193:194], v[205:206]
	v_add_f64 v[48:49], v[183:184], v[177:178]
	v_fma_f64 v[183:184], v[64:65], s[22:23], -v[195:196]
	v_mul_f64 v[195:196], v[131:132], s[40:41]
	v_add_f64 v[203:204], v[24:25], v[16:17]
	v_fma_f64 v[201:202], v[151:152], s[8:9], v[213:214]
	v_mul_f64 v[177:178], v[149:150], s[8:9]
	v_fma_f64 v[205:206], v[139:140], s[42:43], v[179:180]
	v_add_f64 v[181:182], v[18:19], v[181:182]
	v_fma_f64 v[209:210], v[68:69], s[20:21], v[209:210]
	v_add_f64 v[197:198], v[197:198], v[207:208]
	v_fma_f64 v[233:234], v[143:144], s[42:43], -v[211:212]
	v_mul_f64 v[235:236], v[127:128], s[28:29]
	v_add_f64 v[22:23], v[22:23], v[26:27]
	v_add_f64 v[185:186], v[185:186], v[187:188]
	v_mul_f64 v[187:188], v[147:148], s[8:9]
	v_fma_f64 v[171:172], v[155:156], s[4:5], v[171:172]
	v_fma_f64 v[237:238], v[70:71], s[10:11], v[217:218]
	v_fma_f64 v[179:180], v[139:140], s[42:43], -v[179:180]
	v_add_f64 v[215:216], v[215:216], v[219:220]
	v_add_f64 v[173:174], v[173:174], v[175:176]
	v_mul_f64 v[26:27], v[145:146], s[10:11]
	v_add_f64 v[24:25], v[191:192], v[193:194]
	v_mul_f64 v[191:192], v[125:126], s[28:29]
	v_fma_f64 v[169:170], v[157:158], s[30:31], v[169:170]
	v_fma_f64 v[193:194], v[68:69], s[10:11], -v[195:196]
	v_add_f64 v[20:21], v[20:21], v[203:204]
	v_add_f64 v[175:176], v[201:202], v[189:190]
	v_mul_f64 v[189:190], v[133:134], s[40:41]
	v_fma_f64 v[203:204], v[70:71], s[10:11], -v[217:218]
	v_add_f64 v[181:182], v[183:184], v[181:182]
	v_fma_f64 v[183:184], v[135:136], s[24:25], v[177:178]
	v_add_f64 v[197:198], v[205:206], v[197:198]
	v_fma_f64 v[205:206], v[66:67], s[22:23], v[222:223]
	v_add_f64 v[209:210], v[16:17], v[209:210]
	v_mul_f64 v[217:218], v[72:73], s[46:47]
	v_fma_f64 v[219:220], v[64:65], s[36:37], v[235:236]
	v_fma_f64 v[201:202], v[137:138], s[24:25], -v[187:188]
	v_add_f64 v[22:23], v[82:83], v[22:23]
	v_add_f64 v[222:223], v[18:19], v[237:238]
	v_fma_f64 v[177:178], v[135:136], s[24:25], -v[177:178]
	v_add_f64 v[215:216], v[233:234], v[215:216]
	v_mul_f64 v[233:234], v[74:75], s[46:47]
	v_add_f64 v[171:172], v[171:172], v[173:174]
	v_fma_f64 v[173:174], v[151:152], s[34:35], v[213:214]
	v_fma_f64 v[237:238], v[66:67], s[36:37], -v[191:192]
	v_mul_f64 v[213:214], v[60:61], s[14:15]
	v_add_f64 v[193:194], v[16:17], v[193:194]
	v_add_f64 v[20:21], v[80:81], v[20:21]
	v_fma_f64 v[80:81], v[155:156], s[18:19], v[26:27]
	v_fma_f64 v[82:83], v[64:65], s[36:37], -v[235:236]
	v_add_f64 v[203:204], v[18:19], v[203:204]
	v_add_f64 v[179:180], v[179:180], v[181:182]
	v_fma_f64 v[181:182], v[129:130], s[10:11], v[189:190]
	v_add_f64 v[183:184], v[183:184], v[197:198]
	v_mul_f64 v[197:198], v[161:162], s[26:27]
	v_fma_f64 v[211:212], v[143:144], s[42:43], v[211:212]
	v_add_f64 v[205:206], v[205:206], v[209:210]
	v_mul_f64 v[209:210], v[149:150], s[52:53]
	v_fma_f64 v[235:236], v[139:140], s[22:23], v[217:218]
	v_fma_f64 v[195:196], v[68:69], s[10:11], v[195:196]
	v_add_f64 v[219:220], v[219:220], v[222:223]
	v_add_f64 v[22:23], v[90:91], v[22:23]
	;; [unrolled: 1-line block ×3, first 2 shown]
	v_mul_f64 v[215:216], v[147:148], s[52:53]
	v_fma_f64 v[222:223], v[143:144], s[22:23], -v[233:234]
	v_add_f64 v[169:170], v[169:170], v[171:172]
	v_mul_f64 v[171:172], v[58:59], s[38:39]
	v_fma_f64 v[189:190], v[129:130], s[10:11], -v[189:190]
	v_add_f64 v[193:194], v[237:238], v[193:194]
	v_add_f64 v[20:21], v[88:89], v[20:21]
	v_fma_f64 v[90:91], v[139:140], s[22:23], -v[217:218]
	v_fma_f64 v[187:188], v[137:138], s[24:25], v[187:188]
	v_add_f64 v[82:83], v[82:83], v[203:204]
	v_add_f64 v[177:178], v[177:178], v[179:180]
	v_fma_f64 v[179:180], v[153:154], s[26:27], v[213:214]
	v_add_f64 v[181:182], v[181:182], v[183:184]
	v_mul_f64 v[183:184], v[163:164], s[36:37]
	v_fma_f64 v[88:89], v[157:158], s[56:57], v[197:198]
	v_add_f64 v[203:204], v[211:212], v[205:206]
	v_mul_f64 v[205:206], v[133:134], s[48:49]
	v_fma_f64 v[211:212], v[135:136], s[42:43], v[209:210]
	v_fma_f64 v[191:192], v[66:67], s[36:37], v[191:192]
	v_add_f64 v[217:218], v[235:236], v[219:220]
	v_add_f64 v[195:196], v[16:17], v[195:196]
	;; [unrolled: 1-line block ×3, first 2 shown]
	v_mul_f64 v[219:220], v[145:146], s[50:51]
	v_fma_f64 v[235:236], v[137:138], s[42:43], -v[215:216]
	v_add_f64 v[22:23], v[94:95], v[22:23]
	v_mul_f64 v[199:200], v[159:160], s[36:37]
	v_fma_f64 v[213:214], v[153:154], s[26:27], -v[213:214]
	v_add_f64 v[193:194], v[222:223], v[193:194]
	v_add_f64 v[20:21], v[92:93], v[20:21]
	v_fma_f64 v[94:95], v[135:136], s[42:43], -v[209:210]
	v_mul_f64 v[201:202], v[56:57], s[48:49]
	v_add_f64 v[82:83], v[90:91], v[82:83]
	v_add_f64 v[177:178], v[189:190], v[177:178]
	v_fma_f64 v[189:190], v[54:55], s[36:37], v[171:172]
	v_add_f64 v[179:180], v[179:180], v[181:182]
	v_fma_f64 v[92:93], v[151:152], s[28:29], v[183:184]
	v_mul_f64 v[181:182], v[159:160], s[50:51]
	v_add_f64 v[90:91], v[187:188], v[203:204]
	v_mul_f64 v[187:188], v[60:61], s[34:35]
	v_fma_f64 v[203:204], v[129:130], s[50:51], v[205:206]
	v_fma_f64 v[171:172], v[54:55], s[36:37], -v[171:172]
	v_add_f64 v[209:210], v[211:212], v[217:218]
	v_add_f64 v[191:192], v[191:192], v[195:196]
	;; [unrolled: 1-line block ×3, first 2 shown]
	v_mul_f64 v[195:196], v[161:162], s[24:25]
	v_fma_f64 v[211:212], v[155:156], s[54:55], v[219:220]
	v_add_f64 v[22:23], v[102:103], v[22:23]
	v_fma_f64 v[207:208], v[141:142], s[38:39], v[199:200]
	v_fma_f64 v[88:89], v[141:142], s[28:29], v[199:200]
	v_add_f64 v[193:194], v[235:236], v[193:194]
	v_add_f64 v[20:21], v[100:101], v[20:21]
	v_fma_f64 v[199:200], v[143:144], s[22:23], v[233:234]
	v_fma_f64 v[102:103], v[129:130], s[50:51], -v[205:206]
	v_add_f64 v[82:83], v[94:95], v[82:83]
	v_add_f64 v[177:178], v[213:214], v[177:178]
	v_fma_f64 v[94:95], v[157:158], s[14:15], v[197:198]
	v_add_f64 v[179:180], v[189:190], v[179:180]
	v_add_f64 v[169:170], v[173:174], v[169:170]
	v_fma_f64 v[173:174], v[52:53], s[50:51], v[201:202]
	v_fma_f64 v[100:101], v[141:142], s[54:55], v[181:182]
	;; [unrolled: 1-line block ×4, first 2 shown]
	v_add_f64 v[197:198], v[203:204], v[209:210]
	v_fma_f64 v[203:204], v[137:138], s[42:43], v[215:216]
	v_add_f64 v[80:81], v[92:93], v[80:81]
	v_mul_f64 v[92:93], v[62:63], s[54:55]
	v_fma_f64 v[205:206], v[157:158], s[8:9], v[195:196]
	v_mul_f64 v[62:63], v[62:63], s[34:35]
	v_add_f64 v[22:23], v[110:111], v[22:23]
	v_mul_f64 v[110:111], v[131:132], s[54:55]
	v_add_f64 v[193:194], v[211:212], v[193:194]
	v_add_f64 v[20:21], v[108:109], v[20:21]
	;; [unrolled: 1-line block ×3, first 2 shown]
	v_mul_f64 v[108:109], v[131:132], s[34:35]
	v_fma_f64 v[199:200], v[52:53], s[50:51], -v[201:202]
	v_mul_f64 v[201:202], v[163:164], s[20:21]
	v_add_f64 v[171:172], v[171:172], v[177:178]
	v_fma_f64 v[177:178], v[141:142], s[48:49], v[181:182]
	v_fma_f64 v[181:182], v[153:154], s[24:25], -v[187:188]
	v_add_f64 v[82:83], v[102:103], v[82:83]
	v_fma_f64 v[102:103], v[151:152], s[38:39], v[183:184]
	v_mul_f64 v[187:188], v[127:128], s[44:45]
	v_mul_f64 v[127:128], v[127:128], s[54:55]
	;; [unrolled: 1-line block ×3, first 2 shown]
	v_add_f64 v[183:184], v[189:190], v[197:198]
	v_fma_f64 v[197:198], v[155:156], s[48:49], v[219:220]
	v_add_f64 v[26:27], v[26:27], v[90:91]
	v_fma_f64 v[189:190], v[70:71], s[50:51], -v[92:93]
	v_fma_f64 v[92:93], v[70:71], s[50:51], v[92:93]
	v_mul_f64 v[90:91], v[58:59], s[44:45]
	v_add_f64 v[22:23], v[118:119], v[22:23]
	v_fma_f64 v[118:119], v[68:69], s[50:51], v[110:111]
	v_add_f64 v[193:194], v[205:206], v[193:194]
	v_fma_f64 v[205:206], v[70:71], s[24:25], -v[62:63]
	v_add_f64 v[20:21], v[116:117], v[20:21]
	v_add_f64 v[191:192], v[203:204], v[191:192]
	v_mul_f64 v[203:204], v[125:126], s[44:45]
	v_mul_f64 v[125:126], v[125:126], s[54:55]
	v_fma_f64 v[116:117], v[68:69], s[24:25], v[108:109]
	v_fma_f64 v[110:111], v[68:69], s[50:51], -v[110:111]
	v_fma_f64 v[62:63], v[70:71], s[24:25], v[62:63]
	v_fma_f64 v[68:69], v[68:69], s[24:25], -v[108:109]
	v_fma_f64 v[211:212], v[151:152], s[30:31], v[201:202]
	v_add_f64 v[82:83], v[181:182], v[82:83]
	v_fma_f64 v[181:182], v[151:152], s[44:45], v[201:202]
	v_mul_f64 v[201:202], v[72:73], s[28:29]
	v_fma_f64 v[213:214], v[64:65], s[20:21], -v[187:188]
	v_mul_f64 v[70:71], v[72:73], s[40:41]
	v_mul_f64 v[72:73], v[74:75], s[40:41]
	v_add_f64 v[189:190], v[18:19], v[189:190]
	v_fma_f64 v[74:75], v[64:65], s[50:51], -v[127:128]
	v_add_f64 v[92:93], v[18:19], v[92:93]
	v_add_f64 v[22:23], v[122:123], v[22:23]
	;; [unrolled: 1-line block ×3, first 2 shown]
	v_fma_f64 v[122:123], v[64:65], s[20:21], v[187:188]
	v_add_f64 v[108:109], v[18:19], v[205:206]
	v_add_f64 v[20:21], v[120:121], v[20:21]
	;; [unrolled: 1-line block ×3, first 2 shown]
	v_fma_f64 v[197:198], v[66:67], s[20:21], v[203:204]
	v_fma_f64 v[205:206], v[66:67], s[50:51], v[125:126]
	v_add_f64 v[116:117], v[16:17], v[116:117]
	v_fma_f64 v[203:204], v[66:67], s[20:21], -v[203:204]
	v_add_f64 v[110:111], v[16:17], v[110:111]
	v_fma_f64 v[64:65], v[64:65], s[50:51], v[127:128]
	v_add_f64 v[18:19], v[18:19], v[62:63]
	v_fma_f64 v[62:63], v[66:67], s[50:51], -v[125:126]
	v_add_f64 v[16:17], v[16:17], v[68:69]
	v_mul_f64 v[120:121], v[149:150], s[4:5]
	v_fma_f64 v[217:218], v[139:140], s[36:37], -v[201:202]
	v_mul_f64 v[149:150], v[149:150], s[44:45]
	v_fma_f64 v[68:69], v[139:140], s[10:11], -v[70:71]
	v_add_f64 v[189:190], v[213:214], v[189:190]
	v_mul_f64 v[66:67], v[147:148], s[44:45]
	v_mul_f64 v[187:188], v[147:148], s[4:5]
	v_add_f64 v[22:23], v[114:115], v[22:23]
	v_fma_f64 v[213:214], v[143:144], s[36:37], v[215:216]
	v_add_f64 v[92:93], v[122:123], v[92:93]
	v_add_f64 v[74:75], v[74:75], v[108:109]
	;; [unrolled: 1-line block ×3, first 2 shown]
	v_fma_f64 v[108:109], v[143:144], s[10:11], v[72:73]
	v_add_f64 v[114:115], v[197:198], v[118:119]
	v_fma_f64 v[118:119], v[139:140], s[36:37], v[201:202]
	v_add_f64 v[112:113], v[205:206], v[116:117]
	v_fma_f64 v[125:126], v[143:144], s[36:37], -v[215:216]
	v_add_f64 v[110:111], v[203:204], v[110:111]
	v_fma_f64 v[70:71], v[139:140], s[10:11], v[70:71]
	v_add_f64 v[18:19], v[64:65], v[18:19]
	v_fma_f64 v[64:65], v[143:144], s[10:11], -v[72:73]
	v_add_f64 v[16:17], v[62:63], v[16:17]
	v_mul_f64 v[116:117], v[133:134], s[56:57]
	v_fma_f64 v[127:128], v[135:136], s[22:23], -v[120:121]
	v_mul_f64 v[133:134], v[133:134], s[16:17]
	v_fma_f64 v[72:73], v[135:136], s[20:21], -v[149:150]
	v_add_f64 v[147:148], v[217:218], v[189:190]
	v_mul_f64 v[62:63], v[145:146], s[42:43]
	v_mul_f64 v[122:123], v[145:146], s[26:27]
	v_add_f64 v[22:23], v[106:107], v[22:23]
	v_fma_f64 v[189:190], v[137:138], s[22:23], v[187:188]
	v_fma_f64 v[195:196], v[157:158], s[34:35], v[195:196]
	v_add_f64 v[68:69], v[68:69], v[74:75]
	v_add_f64 v[20:21], v[104:105], v[20:21]
	v_fma_f64 v[74:75], v[137:138], s[20:21], v[66:67]
	v_add_f64 v[106:107], v[213:214], v[114:115]
	v_add_f64 v[92:93], v[118:119], v[92:93]
	;; [unrolled: 1-line block ×3, first 2 shown]
	v_fma_f64 v[112:113], v[135:136], s[22:23], v[120:121]
	v_fma_f64 v[118:119], v[137:138], s[22:23], -v[187:188]
	v_add_f64 v[110:111], v[125:126], v[110:111]
	v_fma_f64 v[135:136], v[135:136], s[20:21], v[149:150]
	v_add_f64 v[18:19], v[70:71], v[18:19]
	v_fma_f64 v[66:67], v[137:138], s[20:21], -v[66:67]
	v_add_f64 v[16:17], v[64:65], v[16:17]
	v_mul_f64 v[108:109], v[60:61], s[52:53]
	v_fma_f64 v[120:121], v[129:130], s[26:27], -v[116:117]
	v_mul_f64 v[60:61], v[60:61], s[28:29]
	v_add_f64 v[125:126], v[127:128], v[147:148]
	v_fma_f64 v[70:71], v[129:130], s[42:43], -v[133:134]
	v_mul_f64 v[64:65], v[161:162], s[36:37]
	v_add_f64 v[22:23], v[98:99], v[22:23]
	v_mul_f64 v[114:115], v[161:162], s[42:43]
	v_fma_f64 v[127:128], v[155:156], s[56:57], v[122:123]
	v_add_f64 v[68:69], v[72:73], v[68:69]
	v_add_f64 v[20:21], v[96:97], v[20:21]
	v_fma_f64 v[72:73], v[155:156], s[16:17], v[62:63]
	v_add_f64 v[96:97], v[189:190], v[106:107]
	v_fma_f64 v[62:63], v[155:156], s[52:53], v[62:63]
	;; [unrolled: 2-line block ×5, first 2 shown]
	v_add_f64 v[18:19], v[135:136], v[18:19]
	v_add_f64 v[16:17], v[66:67], v[16:17]
	v_mul_f64 v[98:99], v[58:59], s[18:19]
	v_fma_f64 v[116:117], v[153:154], s[42:43], -v[108:109]
	v_mul_f64 v[58:59], v[58:59], s[14:15]
	v_add_f64 v[118:119], v[120:121], v[125:126]
	v_fma_f64 v[125:126], v[153:154], s[36:37], -v[60:61]
	v_mul_f64 v[66:67], v[163:164], s[26:27]
	v_add_f64 v[22:23], v[86:87], v[22:23]
	v_mul_f64 v[106:107], v[163:164], s[10:11]
	v_fma_f64 v[120:121], v[157:158], s[52:53], v[114:115]
	v_add_f64 v[68:69], v[70:71], v[68:69]
	v_add_f64 v[20:21], v[84:85], v[20:21]
	v_fma_f64 v[70:71], v[157:158], s[28:29], v[64:65]
	v_fma_f64 v[131:132], v[54:55], s[20:21], v[90:91]
	v_fma_f64 v[90:91], v[54:55], s[20:21], -v[90:91]
	v_add_f64 v[72:73], v[72:73], v[74:75]
	v_add_f64 v[74:75], v[127:128], v[96:97]
	v_fma_f64 v[86:87], v[153:154], s[42:43], v[108:109]
	v_add_f64 v[92:93], v[104:105], v[92:93]
	v_fma_f64 v[104:105], v[157:158], s[16:17], v[114:115]
	v_add_f64 v[108:109], v[112:113], v[110:111]
	v_fma_f64 v[60:61], v[153:154], s[36:37], v[60:61]
	v_add_f64 v[18:19], v[122:123], v[18:19]
	v_fma_f64 v[64:65], v[157:158], s[38:39], v[64:65]
	v_add_f64 v[16:17], v[62:63], v[16:17]
	v_add_f64 v[26:27], v[94:95], v[26:27]
	v_mul_f64 v[94:95], v[56:57], s[14:15]
	v_mul_f64 v[84:85], v[56:57], s[8:9]
	v_add_f64 v[112:113], v[116:117], v[118:119]
	v_mul_f64 v[56:57], v[56:57], s[4:5]
	v_fma_f64 v[116:117], v[54:55], s[26:27], -v[58:59]
	v_add_f64 v[22:23], v[78:79], v[22:23]
	v_add_f64 v[68:69], v[125:126], v[68:69]
	;; [unrolled: 1-line block ×3, first 2 shown]
	v_mul_f64 v[62:63], v[159:160], s[22:23]
	v_fma_f64 v[118:119], v[151:152], s[14:15], v[66:67]
	v_mul_f64 v[96:97], v[159:160], s[24:25]
	v_add_f64 v[70:71], v[70:71], v[72:73]
	v_fma_f64 v[110:111], v[54:55], s[10:11], -v[98:99]
	v_fma_f64 v[114:115], v[151:152], s[18:19], v[106:107]
	v_add_f64 v[72:73], v[120:121], v[74:75]
	v_mul_f64 v[209:210], v[159:160], s[26:27]
	v_add_f64 v[74:75], v[195:196], v[191:192]
	v_add_f64 v[78:79], v[90:91], v[82:83]
	v_fma_f64 v[90:91], v[54:55], s[10:11], v[98:99]
	v_add_f64 v[86:87], v[86:87], v[92:93]
	v_fma_f64 v[92:93], v[151:152], s[40:41], v[106:107]
	;; [unrolled: 2-line block ×4, first 2 shown]
	v_add_f64 v[16:17], v[64:65], v[16:17]
	v_fma_f64 v[60:61], v[52:53], s[22:23], -v[56:57]
	v_add_f64 v[6:7], v[6:7], v[22:23]
	v_add_f64 v[66:67], v[116:117], v[68:69]
	;; [unrolled: 1-line block ×3, first 2 shown]
	v_fma_f64 v[68:69], v[141:142], s[4:5], v[62:63]
	v_fma_f64 v[104:105], v[52:53], s[24:25], -v[84:85]
	v_fma_f64 v[64:65], v[141:142], s[8:9], v[96:97]
	v_add_f64 v[22:23], v[118:119], v[70:71]
	v_add_f64 v[106:107], v[110:111], v[112:113]
	v_fma_f64 v[76:77], v[52:53], s[26:27], -v[94:95]
	v_add_f64 v[70:71], v[114:115], v[72:73]
	v_fma_f64 v[82:83], v[141:142], s[14:15], v[209:210]
	v_add_f64 v[72:73], v[181:182], v[74:75]
	v_add_f64 v[26:27], v[102:103], v[26:27]
	v_fma_f64 v[74:75], v[52:53], s[26:27], v[94:95]
	v_add_f64 v[94:95], v[131:132], v[183:184]
	v_fma_f64 v[102:103], v[141:142], s[56:57], v[209:210]
	;; [unrolled: 2-line block ×6, first 2 shown]
	v_add_f64 v[112:113], v[58:59], v[16:17]
	v_add_f64 v[58:59], v[60:61], v[66:67]
	v_add_f64 v[62:63], v[2:3], v[6:7]
	v_add_f64 v[60:61], v[0:1], v[20:21]
	v_add_f64 v[56:57], v[68:69], v[22:23]
	v_add_f64 v[54:55], v[104:105], v[106:107]
	v_add_f64 v[18:19], v[76:77], v[78:79]
	v_add_f64 v[52:53], v[64:65], v[70:71]
	v_add_f64 v[4:5], v[199:200], v[171:172]
	v_add_f64 v[16:17], v[82:83], v[72:73]
	v_add_f64 v[2:3], v[177:178], v[26:27]
	v_add_f64 v[22:23], v[88:89], v[169:170]
	v_add_f64 v[66:67], v[165:166], v[185:186]
	v_add_f64 v[64:65], v[207:208], v[175:176]
	v_and_b32_e32 v0, 0xffff, v221
	v_add_f64 v[70:71], v[173:174], v[179:180]
	v_add_f64 v[68:69], v[100:101], v[80:81]
	;; [unrolled: 1-line block ×8, first 2 shown]
	v_lshl_add_u32 v0, v0, 4, v232
	ds_write_b128 v0, v[60:63]
	ds_write_b128 v0, v[56:59] offset:16
	ds_write_b128 v0, v[52:55] offset:32
	;; [unrolled: 1-line block ×16, first 2 shown]
.LBB0_13:
	s_or_b32 exec_lo, exec_lo, s33
	s_waitcnt lgkmcnt(0)
	s_barrier
	buffer_gl0_inv
	ds_read_b128 v[0:3], v168 offset:272
	ds_read_b128 v[4:7], v168 offset:544
	s_mov_b32 s4, 0xe8584caa
	s_mov_b32 s5, 0xbfebb67a
	;; [unrolled: 1-line block ×4, first 2 shown]
	s_waitcnt lgkmcnt(1)
	v_mul_f64 v[16:17], v[14:15], v[2:3]
	s_waitcnt lgkmcnt(0)
	v_mul_f64 v[18:19], v[10:11], v[6:7]
	v_mul_f64 v[14:15], v[14:15], v[0:1]
	;; [unrolled: 1-line block ×3, first 2 shown]
	v_fma_f64 v[16:17], v[12:13], v[0:1], v[16:17]
	v_fma_f64 v[4:5], v[8:9], v[4:5], v[18:19]
	v_fma_f64 v[12:13], v[12:13], v[2:3], -v[14:15]
	v_fma_f64 v[6:7], v[8:9], v[6:7], -v[10:11]
	ds_read_b128 v[0:3], v168
	v_add_f64 v[8:9], v[16:17], v[4:5]
	s_waitcnt lgkmcnt(0)
	v_add_f64 v[14:15], v[0:1], v[16:17]
	v_add_f64 v[10:11], v[12:13], v[6:7]
	v_add_f64 v[18:19], v[12:13], -v[6:7]
	v_add_f64 v[12:13], v[2:3], v[12:13]
	v_add_f64 v[16:17], v[16:17], -v[4:5]
	v_fma_f64 v[8:9], v[8:9], -0.5, v[0:1]
	v_add_f64 v[0:1], v[14:15], v[4:5]
	v_fma_f64 v[10:11], v[10:11], -0.5, v[2:3]
	v_add_f64 v[2:3], v[12:13], v[6:7]
	v_fma_f64 v[4:5], v[18:19], s[4:5], v[8:9]
	v_fma_f64 v[8:9], v[18:19], s[8:9], v[8:9]
	;; [unrolled: 1-line block ×4, first 2 shown]
	ds_write_b128 v167, v[0:3]
	ds_write_b128 v167, v[4:7] offset:272
	ds_write_b128 v167, v[8:11] offset:544
	s_waitcnt lgkmcnt(0)
	s_barrier
	buffer_gl0_inv
	s_and_b32 exec_lo, exec_lo, vcc_lo
	s_cbranch_execz .LBB0_15
; %bb.14:
	global_load_dwordx4 v[3:6], v226, s[6:7]
	ds_read_b128 v[7:10], v167
	v_lshl_add_u32 v2, v231, 4, v226
	v_mad_u64_u32 v[15:16], null, s2, v124, 0
	s_mul_i32 s4, s1, 48
	s_mul_hi_u32 s8, s0, 48
	ds_read_b128 v[11:14], v2 offset:48
	s_mul_i32 s5, s0, 48
	s_add_i32 s4, s8, s4
	s_mul_i32 s8, s1, 0x60
	s_mul_hi_u32 s10, s0, 0x60
	s_mul_i32 s9, s0, 0x60
	s_add_i32 s8, s10, s8
	s_waitcnt vmcnt(0) lgkmcnt(1)
	v_mul_f64 v[0:1], v[9:10], v[5:6]
	v_mul_f64 v[5:6], v[7:8], v[5:6]
	v_fma_f64 v[0:1], v[7:8], v[3:4], v[0:1]
	v_fma_f64 v[5:6], v[3:4], v[9:10], -v[5:6]
	v_mad_u64_u32 v[7:8], null, s0, v230, 0
	v_mov_b32_e32 v3, v16
	v_mov_b32_e32 v4, v8
	v_mad_u64_u32 v[8:9], null, s3, v124, v[3:4]
	s_mov_b32 s2, 0x14141414
	s_mov_b32 s3, 0x3f941414
	v_mov_b32_e32 v16, v8
	v_mad_u64_u32 v[9:10], null, s1, v230, v[4:5]
	v_mul_f64 v[3:4], v[0:1], s[2:3]
	v_mul_f64 v[5:6], v[5:6], s[2:3]
	v_lshlrev_b64 v[0:1], 4, v[15:16]
	v_mov_b32_e32 v8, v9
	v_add_co_u32 v0, vcc_lo, s12, v0
	v_add_co_ci_u32_e32 v1, vcc_lo, s13, v1, vcc_lo
	v_lshlrev_b64 v[7:8], 4, v[7:8]
	v_add_co_u32 v7, vcc_lo, v0, v7
	v_add_co_ci_u32_e32 v8, vcc_lo, v1, v8, vcc_lo
	v_add_co_u32 v15, vcc_lo, v7, s5
	global_store_dwordx4 v[7:8], v[3:6], off
	global_load_dwordx4 v[3:6], v226, s[6:7] offset:48
	v_add_co_ci_u32_e32 v16, vcc_lo, s4, v8, vcc_lo
	s_waitcnt vmcnt(0) lgkmcnt(0)
	v_mul_f64 v[9:10], v[13:14], v[5:6]
	v_mul_f64 v[5:6], v[11:12], v[5:6]
	v_fma_f64 v[9:10], v[11:12], v[3:4], v[9:10]
	v_fma_f64 v[5:6], v[3:4], v[13:14], -v[5:6]
	v_mul_f64 v[3:4], v[9:10], s[2:3]
	v_mul_f64 v[5:6], v[5:6], s[2:3]
	global_store_dwordx4 v[15:16], v[3:6], off
	global_load_dwordx4 v[3:6], v226, s[6:7] offset:96
	ds_read_b128 v[7:10], v2 offset:96
	ds_read_b128 v[11:14], v2 offset:144
	s_waitcnt vmcnt(0) lgkmcnt(1)
	v_mul_f64 v[17:18], v[9:10], v[5:6]
	v_mul_f64 v[5:6], v[7:8], v[5:6]
	v_fma_f64 v[7:8], v[7:8], v[3:4], v[17:18]
	v_fma_f64 v[5:6], v[3:4], v[9:10], -v[5:6]
	v_mul_f64 v[3:4], v[7:8], s[2:3]
	v_mul_f64 v[5:6], v[5:6], s[2:3]
	v_add_co_u32 v7, vcc_lo, v15, s5
	v_add_co_ci_u32_e32 v8, vcc_lo, s4, v16, vcc_lo
	v_add_co_u32 v15, vcc_lo, v7, s5
	v_add_co_ci_u32_e32 v16, vcc_lo, s4, v8, vcc_lo
	global_store_dwordx4 v[7:8], v[3:6], off
	global_load_dwordx4 v[3:6], v226, s[6:7] offset:144
	s_waitcnt vmcnt(0) lgkmcnt(0)
	v_mul_f64 v[9:10], v[13:14], v[5:6]
	v_mul_f64 v[5:6], v[11:12], v[5:6]
	v_fma_f64 v[9:10], v[11:12], v[3:4], v[9:10]
	v_fma_f64 v[5:6], v[3:4], v[13:14], -v[5:6]
	v_mul_f64 v[3:4], v[9:10], s[2:3]
	v_mul_f64 v[5:6], v[5:6], s[2:3]
	global_store_dwordx4 v[15:16], v[3:6], off
	global_load_dwordx4 v[3:6], v226, s[6:7] offset:192
	ds_read_b128 v[7:10], v2 offset:192
	ds_read_b128 v[11:14], v2 offset:240
	s_waitcnt vmcnt(0) lgkmcnt(1)
	v_mul_f64 v[17:18], v[9:10], v[5:6]
	v_mul_f64 v[5:6], v[7:8], v[5:6]
	v_fma_f64 v[7:8], v[7:8], v[3:4], v[17:18]
	v_fma_f64 v[5:6], v[3:4], v[9:10], -v[5:6]
	v_mad_u64_u32 v[9:10], null, s0, v229, 0
	v_mov_b32_e32 v3, v10
	v_mad_u64_u32 v[17:18], null, s1, v229, v[3:4]
	v_mul_f64 v[3:4], v[7:8], s[2:3]
	v_mul_f64 v[5:6], v[5:6], s[2:3]
	v_mov_b32_e32 v10, v17
	v_lshlrev_b64 v[7:8], 4, v[9:10]
	v_add_co_u32 v7, vcc_lo, v0, v7
	v_add_co_ci_u32_e32 v8, vcc_lo, v1, v8, vcc_lo
	v_add_co_u32 v15, vcc_lo, v15, s9
	v_add_co_ci_u32_e32 v16, vcc_lo, s8, v16, vcc_lo
	global_store_dwordx4 v[7:8], v[3:6], off
	global_load_dwordx4 v[3:6], v226, s[6:7] offset:240
	s_waitcnt vmcnt(0) lgkmcnt(0)
	v_mul_f64 v[7:8], v[13:14], v[5:6]
	v_mul_f64 v[5:6], v[11:12], v[5:6]
	v_fma_f64 v[7:8], v[11:12], v[3:4], v[7:8]
	v_fma_f64 v[5:6], v[3:4], v[13:14], -v[5:6]
	v_mul_f64 v[3:4], v[7:8], s[2:3]
	v_mul_f64 v[5:6], v[5:6], s[2:3]
	global_store_dwordx4 v[15:16], v[3:6], off
	global_load_dwordx4 v[3:6], v226, s[6:7] offset:288
	ds_read_b128 v[7:10], v2 offset:288
	ds_read_b128 v[11:14], v2 offset:336
	s_waitcnt vmcnt(0) lgkmcnt(1)
	v_mul_f64 v[17:18], v[9:10], v[5:6]
	v_mul_f64 v[5:6], v[7:8], v[5:6]
	v_fma_f64 v[7:8], v[7:8], v[3:4], v[17:18]
	v_fma_f64 v[5:6], v[3:4], v[9:10], -v[5:6]
	v_mul_f64 v[3:4], v[7:8], s[2:3]
	v_mul_f64 v[5:6], v[5:6], s[2:3]
	v_add_co_u32 v7, vcc_lo, v15, s5
	v_add_co_ci_u32_e32 v8, vcc_lo, s4, v16, vcc_lo
	v_add_co_u32 v15, vcc_lo, v7, s5
	v_add_co_ci_u32_e32 v16, vcc_lo, s4, v8, vcc_lo
	global_store_dwordx4 v[7:8], v[3:6], off
	global_load_dwordx4 v[3:6], v226, s[6:7] offset:336
	s_waitcnt vmcnt(0) lgkmcnt(0)
	v_mul_f64 v[9:10], v[13:14], v[5:6]
	v_mul_f64 v[5:6], v[11:12], v[5:6]
	v_fma_f64 v[9:10], v[11:12], v[3:4], v[9:10]
	v_fma_f64 v[5:6], v[3:4], v[13:14], -v[5:6]
	v_mul_f64 v[3:4], v[9:10], s[2:3]
	v_mul_f64 v[5:6], v[5:6], s[2:3]
	global_store_dwordx4 v[15:16], v[3:6], off
	global_load_dwordx4 v[3:6], v226, s[6:7] offset:384
	ds_read_b128 v[7:10], v2 offset:384
	ds_read_b128 v[11:14], v2 offset:432
	s_waitcnt vmcnt(0) lgkmcnt(1)
	v_mul_f64 v[17:18], v[9:10], v[5:6]
	v_mul_f64 v[5:6], v[7:8], v[5:6]
	v_fma_f64 v[7:8], v[7:8], v[3:4], v[17:18]
	v_fma_f64 v[5:6], v[3:4], v[9:10], -v[5:6]
	v_mad_u64_u32 v[9:10], null, s0, v228, 0
	v_mov_b32_e32 v3, v10
	v_mad_u64_u32 v[17:18], null, s1, v228, v[3:4]
	v_mul_f64 v[3:4], v[7:8], s[2:3]
	v_mul_f64 v[5:6], v[5:6], s[2:3]
	v_mov_b32_e32 v10, v17
	v_lshlrev_b64 v[7:8], 4, v[9:10]
	v_add_co_u32 v7, vcc_lo, v0, v7
	v_add_co_ci_u32_e32 v8, vcc_lo, v1, v8, vcc_lo
	v_add_co_u32 v15, vcc_lo, v15, s9
	v_add_co_ci_u32_e32 v16, vcc_lo, s8, v16, vcc_lo
	global_store_dwordx4 v[7:8], v[3:6], off
	global_load_dwordx4 v[3:6], v226, s[6:7] offset:432
	;; [unrolled: 53-line block ×3, first 2 shown]
	s_waitcnt vmcnt(0) lgkmcnt(0)
	v_mul_f64 v[7:8], v[13:14], v[5:6]
	v_mul_f64 v[5:6], v[11:12], v[5:6]
	v_fma_f64 v[7:8], v[11:12], v[3:4], v[7:8]
	v_fma_f64 v[5:6], v[3:4], v[13:14], -v[5:6]
	v_mul_f64 v[3:4], v[7:8], s[2:3]
	v_mul_f64 v[5:6], v[5:6], s[2:3]
	global_store_dwordx4 v[15:16], v[3:6], off
	global_load_dwordx4 v[3:6], v226, s[6:7] offset:672
	ds_read_b128 v[7:10], v2 offset:672
	ds_read_b128 v[11:14], v2 offset:720
	s_waitcnt vmcnt(0) lgkmcnt(1)
	v_mul_f64 v[17:18], v[9:10], v[5:6]
	v_mul_f64 v[5:6], v[7:8], v[5:6]
	v_fma_f64 v[7:8], v[7:8], v[3:4], v[17:18]
	v_fma_f64 v[5:6], v[3:4], v[9:10], -v[5:6]
	v_mul_f64 v[3:4], v[7:8], s[2:3]
	v_mul_f64 v[5:6], v[5:6], s[2:3]
	v_add_co_u32 v7, vcc_lo, v15, s5
	v_add_co_ci_u32_e32 v8, vcc_lo, s4, v16, vcc_lo
	global_store_dwordx4 v[7:8], v[3:6], off
	global_load_dwordx4 v[3:6], v226, s[6:7] offset:720
	v_add_co_u32 v7, vcc_lo, v7, s5
	v_add_co_ci_u32_e32 v8, vcc_lo, s4, v8, vcc_lo
	s_waitcnt vmcnt(0) lgkmcnt(0)
	v_mul_f64 v[9:10], v[13:14], v[5:6]
	v_mul_f64 v[5:6], v[11:12], v[5:6]
	v_fma_f64 v[9:10], v[11:12], v[3:4], v[9:10]
	v_fma_f64 v[5:6], v[3:4], v[13:14], -v[5:6]
	v_mul_f64 v[3:4], v[9:10], s[2:3]
	v_mul_f64 v[5:6], v[5:6], s[2:3]
	global_store_dwordx4 v[7:8], v[3:6], off
	global_load_dwordx4 v[3:6], v226, s[6:7] offset:768
	ds_read_b128 v[7:10], v2 offset:768
	s_waitcnt vmcnt(0) lgkmcnt(0)
	v_mul_f64 v[11:12], v[9:10], v[5:6]
	v_mul_f64 v[5:6], v[7:8], v[5:6]
	v_fma_f64 v[7:8], v[7:8], v[3:4], v[11:12]
	v_fma_f64 v[4:5], v[3:4], v[9:10], -v[5:6]
	v_mad_u64_u32 v[9:10], null, s0, v225, 0
	v_mov_b32_e32 v2, v10
	v_mad_u64_u32 v[10:11], null, s1, v225, v[2:3]
	v_mul_f64 v[2:3], v[7:8], s[2:3]
	v_mul_f64 v[4:5], v[4:5], s[2:3]
	v_lshlrev_b64 v[6:7], 4, v[9:10]
	v_add_co_u32 v0, vcc_lo, v0, v6
	v_add_co_ci_u32_e32 v1, vcc_lo, v1, v7, vcc_lo
	global_store_dwordx4 v[0:1], v[2:5], off
.LBB0_15:
	s_endpgm
	.section	.rodata,"a",@progbits
	.p2align	6, 0x0
	.amdhsa_kernel bluestein_single_back_len51_dim1_dp_op_CI_CI
		.amdhsa_group_segment_fixed_size 12240
		.amdhsa_private_segment_fixed_size 0
		.amdhsa_kernarg_size 104
		.amdhsa_user_sgpr_count 6
		.amdhsa_user_sgpr_private_segment_buffer 1
		.amdhsa_user_sgpr_dispatch_ptr 0
		.amdhsa_user_sgpr_queue_ptr 0
		.amdhsa_user_sgpr_kernarg_segment_ptr 1
		.amdhsa_user_sgpr_dispatch_id 0
		.amdhsa_user_sgpr_flat_scratch_init 0
		.amdhsa_user_sgpr_private_segment_size 0
		.amdhsa_wavefront_size32 1
		.amdhsa_uses_dynamic_stack 0
		.amdhsa_system_sgpr_private_segment_wavefront_offset 0
		.amdhsa_system_sgpr_workgroup_id_x 1
		.amdhsa_system_sgpr_workgroup_id_y 0
		.amdhsa_system_sgpr_workgroup_id_z 0
		.amdhsa_system_sgpr_workgroup_info 0
		.amdhsa_system_vgpr_workitem_id 0
		.amdhsa_next_free_vgpr 239
		.amdhsa_next_free_sgpr 58
		.amdhsa_reserve_vcc 1
		.amdhsa_reserve_flat_scratch 0
		.amdhsa_float_round_mode_32 0
		.amdhsa_float_round_mode_16_64 0
		.amdhsa_float_denorm_mode_32 3
		.amdhsa_float_denorm_mode_16_64 3
		.amdhsa_dx10_clamp 1
		.amdhsa_ieee_mode 1
		.amdhsa_fp16_overflow 0
		.amdhsa_workgroup_processor_mode 1
		.amdhsa_memory_ordered 1
		.amdhsa_forward_progress 0
		.amdhsa_shared_vgpr_count 0
		.amdhsa_exception_fp_ieee_invalid_op 0
		.amdhsa_exception_fp_denorm_src 0
		.amdhsa_exception_fp_ieee_div_zero 0
		.amdhsa_exception_fp_ieee_overflow 0
		.amdhsa_exception_fp_ieee_underflow 0
		.amdhsa_exception_fp_ieee_inexact 0
		.amdhsa_exception_int_div_zero 0
	.end_amdhsa_kernel
	.text
.Lfunc_end0:
	.size	bluestein_single_back_len51_dim1_dp_op_CI_CI, .Lfunc_end0-bluestein_single_back_len51_dim1_dp_op_CI_CI
                                        ; -- End function
	.section	.AMDGPU.csdata,"",@progbits
; Kernel info:
; codeLenInByte = 18156
; NumSgprs: 60
; NumVgprs: 239
; ScratchSize: 0
; MemoryBound: 0
; FloatMode: 240
; IeeeMode: 1
; LDSByteSize: 12240 bytes/workgroup (compile time only)
; SGPRBlocks: 7
; VGPRBlocks: 29
; NumSGPRsForWavesPerEU: 60
; NumVGPRsForWavesPerEU: 239
; Occupancy: 4
; WaveLimiterHint : 1
; COMPUTE_PGM_RSRC2:SCRATCH_EN: 0
; COMPUTE_PGM_RSRC2:USER_SGPR: 6
; COMPUTE_PGM_RSRC2:TRAP_HANDLER: 0
; COMPUTE_PGM_RSRC2:TGID_X_EN: 1
; COMPUTE_PGM_RSRC2:TGID_Y_EN: 0
; COMPUTE_PGM_RSRC2:TGID_Z_EN: 0
; COMPUTE_PGM_RSRC2:TIDIG_COMP_CNT: 0
	.text
	.p2alignl 6, 3214868480
	.fill 48, 4, 3214868480
	.type	__hip_cuid_2ea9e340147d6715,@object ; @__hip_cuid_2ea9e340147d6715
	.section	.bss,"aw",@nobits
	.globl	__hip_cuid_2ea9e340147d6715
__hip_cuid_2ea9e340147d6715:
	.byte	0                               ; 0x0
	.size	__hip_cuid_2ea9e340147d6715, 1

	.ident	"AMD clang version 19.0.0git (https://github.com/RadeonOpenCompute/llvm-project roc-6.4.0 25133 c7fe45cf4b819c5991fe208aaa96edf142730f1d)"
	.section	".note.GNU-stack","",@progbits
	.addrsig
	.addrsig_sym __hip_cuid_2ea9e340147d6715
	.amdgpu_metadata
---
amdhsa.kernels:
  - .args:
      - .actual_access:  read_only
        .address_space:  global
        .offset:         0
        .size:           8
        .value_kind:     global_buffer
      - .actual_access:  read_only
        .address_space:  global
        .offset:         8
        .size:           8
        .value_kind:     global_buffer
      - .actual_access:  read_only
        .address_space:  global
        .offset:         16
        .size:           8
        .value_kind:     global_buffer
      - .actual_access:  read_only
        .address_space:  global
        .offset:         24
        .size:           8
        .value_kind:     global_buffer
      - .actual_access:  read_only
        .address_space:  global
        .offset:         32
        .size:           8
        .value_kind:     global_buffer
      - .offset:         40
        .size:           8
        .value_kind:     by_value
      - .address_space:  global
        .offset:         48
        .size:           8
        .value_kind:     global_buffer
      - .address_space:  global
        .offset:         56
        .size:           8
        .value_kind:     global_buffer
      - .address_space:  global
        .offset:         64
        .size:           8
        .value_kind:     global_buffer
      - .address_space:  global
        .offset:         72
        .size:           8
        .value_kind:     global_buffer
      - .offset:         80
        .size:           4
        .value_kind:     by_value
      - .address_space:  global
        .offset:         88
        .size:           8
        .value_kind:     global_buffer
      - .address_space:  global
        .offset:         96
        .size:           8
        .value_kind:     global_buffer
    .group_segment_fixed_size: 12240
    .kernarg_segment_align: 8
    .kernarg_segment_size: 104
    .language:       OpenCL C
    .language_version:
      - 2
      - 0
    .max_flat_workgroup_size: 255
    .name:           bluestein_single_back_len51_dim1_dp_op_CI_CI
    .private_segment_fixed_size: 0
    .sgpr_count:     60
    .sgpr_spill_count: 0
    .symbol:         bluestein_single_back_len51_dim1_dp_op_CI_CI.kd
    .uniform_work_group_size: 1
    .uses_dynamic_stack: false
    .vgpr_count:     239
    .vgpr_spill_count: 0
    .wavefront_size: 32
    .workgroup_processor_mode: 1
amdhsa.target:   amdgcn-amd-amdhsa--gfx1030
amdhsa.version:
  - 1
  - 2
...

	.end_amdgpu_metadata
